;; amdgpu-corpus repo=ROCm/rocFFT kind=compiled arch=gfx950 opt=O3
	.text
	.amdgcn_target "amdgcn-amd-amdhsa--gfx950"
	.amdhsa_code_object_version 6
	.protected	bluestein_single_back_len1911_dim1_sp_op_CI_CI ; -- Begin function bluestein_single_back_len1911_dim1_sp_op_CI_CI
	.globl	bluestein_single_back_len1911_dim1_sp_op_CI_CI
	.p2align	8
	.type	bluestein_single_back_len1911_dim1_sp_op_CI_CI,@function
bluestein_single_back_len1911_dim1_sp_op_CI_CI: ; @bluestein_single_back_len1911_dim1_sp_op_CI_CI
; %bb.0:
	s_load_dwordx4 s[4:7], s[0:1], 0x28
	v_mul_u32_u24_e32 v1, 0x2d1, v0
	v_mov_b32_e32 v71, 0
	v_add_u32_sdwa v6, s2, v1 dst_sel:DWORD dst_unused:UNUSED_PAD src0_sel:DWORD src1_sel:WORD_1
	v_mov_b32_e32 v7, v71
	s_waitcnt lgkmcnt(0)
	v_cmp_gt_u64_e32 vcc, s[4:5], v[6:7]
	s_and_saveexec_b64 s[2:3], vcc
	s_cbranch_execz .LBB0_15
; %bb.1:
	s_load_dwordx4 s[12:15], s[0:1], 0x18
	s_load_dwordx2 s[16:17], s[0:1], 0x0
	s_movk_i32 s2, 0x5b
	v_mul_lo_u16_sdwa v1, v1, s2 dst_sel:DWORD dst_unused:UNUSED_PAD src0_sel:WORD_1 src1_sel:DWORD
	v_sub_u16_e32 v70, v0, v1
	s_waitcnt lgkmcnt(0)
	s_load_dwordx4 s[8:11], s[12:13], 0x0
	v_accvgpr_write_b32 a30, v6
	v_mov_b32_e32 v2, s6
	v_mov_b32_e32 v3, s7
	v_lshlrev_b32_e32 v136, 3, v70
	s_waitcnt lgkmcnt(0)
	v_mad_u64_u32 v[0:1], s[2:3], s10, v6, 0
	v_mov_b32_e32 v4, v1
	v_mad_u64_u32 v[4:5], s[2:3], s11, v6, v[4:5]
	v_mov_b32_e32 v1, v4
	v_mad_u64_u32 v[4:5], s[2:3], s8, v70, 0
	v_mov_b32_e32 v6, v5
	v_mad_u64_u32 v[6:7], s[2:3], s9, v70, v[6:7]
	s_mul_i32 s2, s9, 0x93
	s_mul_hi_u32 s3, s8, 0x93
	v_mov_b32_e32 v5, v6
	v_lshl_add_u64 v[0:1], v[0:1], 3, v[2:3]
	s_add_i32 s3, s3, s2
	s_mul_i32 s2, s8, 0x93
	v_lshl_add_u64 v[0:1], v[4:5], 3, v[0:1]
	s_lshl_b64 s[12:13], s[2:3], 3
	global_load_dwordx2 v[8:9], v[0:1], off
	v_lshl_add_u64 v[0:1], v[0:1], 0, s[12:13]
	v_mov_b32_e32 v137, v71
	global_load_dwordx2 v[60:61], v136, s[16:17]
	global_load_dwordx2 v[58:59], v136, s[16:17] offset:1176
	global_load_dwordx2 v[10:11], v[0:1], off
	v_lshl_add_u64 v[0:1], v[0:1], 0, s[12:13]
	v_lshl_add_u64 v[32:33], s[16:17], 0, v[136:137]
	global_load_dwordx2 v[56:57], v136, s[16:17] offset:2352
	global_load_dwordx2 v[12:13], v[0:1], off
	v_lshl_add_u64 v[0:1], v[0:1], 0, s[12:13]
	s_movk_i32 s2, 0x1000
	global_load_dwordx2 v[14:15], v[0:1], off
	global_load_dwordx2 v[52:53], v136, s[16:17] offset:3528
	v_lshl_add_u64 v[2:3], v[0:1], 0, s[12:13]
	v_add_co_u32_e32 v0, vcc, s2, v32
	global_load_dwordx2 v[16:17], v[2:3], off
	s_nop 0
	v_addc_co_u32_e32 v1, vcc, 0, v33, vcc
	global_load_dwordx2 v[50:51], v[0:1], off offset:608
	v_lshl_add_u64 v[2:3], v[2:3], 0, s[12:13]
	global_load_dwordx2 v[18:19], v[2:3], off
	v_lshl_add_u64 v[2:3], v[2:3], 0, s[12:13]
	s_movk_i32 s2, 0x2000
	global_load_dwordx2 v[54:55], v[0:1], off offset:1784
	global_load_dwordx2 v[20:21], v[2:3], off
	global_load_dwordx2 v[46:47], v[0:1], off offset:2960
	v_lshl_add_u64 v[4:5], v[2:3], 0, s[12:13]
	v_add_co_u32_e32 v2, vcc, s2, v32
	global_load_dwordx2 v[22:23], v[4:5], off
	s_nop 0
	v_addc_co_u32_e32 v3, vcc, 0, v33, vcc
	global_load_dwordx2 v[48:49], v[2:3], off offset:40
	v_lshl_add_u64 v[4:5], v[4:5], 0, s[12:13]
	global_load_dwordx2 v[24:25], v[4:5], off
	global_load_dwordx2 v[42:43], v[2:3], off offset:1216
	v_lshl_add_u64 v[4:5], v[4:5], 0, s[12:13]
	global_load_dwordx2 v[26:27], v[4:5], off
	v_lshl_add_u64 v[4:5], v[4:5], 0, s[12:13]
	s_movk_i32 s2, 0x3000
	global_load_dwordx2 v[44:45], v[2:3], off offset:2392
	global_load_dwordx2 v[28:29], v[4:5], off
	global_load_dwordx2 v[38:39], v[2:3], off offset:3568
	v_lshl_add_u64 v[6:7], v[4:5], 0, s[12:13]
	v_add_co_u32_e32 v4, vcc, s2, v32
	global_load_dwordx2 v[30:31], v[6:7], off
	s_nop 0
	v_addc_co_u32_e32 v5, vcc, 0, v33, vcc
	global_load_dwordx2 v[40:41], v[4:5], off offset:648
	v_accvgpr_write_b32 a0, v32
	v_accvgpr_write_b32 a1, v33
	v_lshl_add_u64 v[6:7], v[6:7], 0, s[12:13]
	global_load_dwordx2 v[36:37], v[4:5], off offset:1824
	global_load_dwordx2 v[32:33], v[6:7], off
	s_load_dwordx2 s[10:11], s[0:1], 0x38
	s_load_dwordx4 s[4:7], s[14:15], 0x0
	v_cmp_gt_u16_e64 s[2:3], 56, v70
	s_waitcnt vmcnt(24)
	v_accvgpr_write_b32 a28, v60
	v_mul_f32_e32 v34, v9, v61
	v_mul_f32_e32 v35, v8, v61
	v_fmac_f32_e32 v34, v8, v60
	v_fma_f32 v35, v9, v60, -v35
	s_waitcnt vmcnt(22)
	v_mul_f32_e32 v8, v11, v59
	v_mul_f32_e32 v9, v10, v59
	v_fmac_f32_e32 v8, v10, v58
	v_fma_f32 v9, v11, v58, -v9
	s_waitcnt vmcnt(20)
	v_mul_f32_e32 v10, v13, v57
	v_mul_f32_e32 v11, v12, v57
	ds_write2_b64 v136, v[34:35], v[8:9] offset1:147
	v_fmac_f32_e32 v10, v12, v56
	s_waitcnt vmcnt(18)
	v_mul_f32_e32 v12, v15, v53
	v_mul_f32_e32 v8, v14, v53
	v_fma_f32 v11, v13, v56, -v11
	v_fmac_f32_e32 v12, v14, v52
	v_fma_f32 v13, v15, v52, -v8
	v_add_u32_e32 v8, 0x800, v136
	s_waitcnt vmcnt(16)
	v_mul_f32_e32 v9, v16, v51
	ds_write2_b64 v8, v[10:11], v[12:13] offset0:38 offset1:185
	v_mul_f32_e32 v10, v17, v51
	v_fma_f32 v11, v17, v50, -v9
	s_waitcnt vmcnt(14)
	v_mul_f32_e32 v12, v19, v55
	v_mul_f32_e32 v9, v18, v55
	v_fmac_f32_e32 v10, v16, v50
	v_fmac_f32_e32 v12, v18, v54
	v_fma_f32 v13, v19, v54, -v9
	v_add_u32_e32 v9, 0x1000, v136
	ds_write2_b64 v9, v[10:11], v[12:13] offset0:76 offset1:223
	s_waitcnt vmcnt(12)
	v_mul_f32_e32 v10, v20, v47
	v_mul_f32_e32 v12, v21, v47
	v_fma_f32 v13, v21, v46, -v10
	s_waitcnt vmcnt(10)
	v_mul_f32_e32 v14, v23, v49
	v_mul_f32_e32 v10, v22, v49
	v_fmac_f32_e32 v12, v20, v46
	v_fmac_f32_e32 v14, v22, v48
	v_fma_f32 v15, v23, v48, -v10
	v_add_u32_e32 v10, 0x1a00, v136
	s_waitcnt vmcnt(8)
	v_mul_f32_e32 v11, v24, v43
	ds_write2_b64 v10, v[12:13], v[14:15] offset0:50 offset1:197
	v_mul_f32_e32 v12, v25, v43
	v_fma_f32 v13, v25, v42, -v11
	s_waitcnt vmcnt(6)
	v_mul_f32_e32 v14, v27, v45
	v_mul_f32_e32 v11, v26, v45
	v_fmac_f32_e32 v12, v24, v42
	v_fmac_f32_e32 v14, v26, v44
	v_fma_f32 v15, v27, v44, -v11
	v_add_u32_e32 v11, 0x2400, v136
	ds_write2_b64 v11, v[12:13], v[14:15] offset0:24 offset1:171
	s_waitcnt vmcnt(4)
	v_mul_f32_e32 v12, v28, v39
	v_mul_f32_e32 v14, v29, v39
	v_fma_f32 v15, v29, v38, -v12
	s_waitcnt vmcnt(2)
	v_mul_f32_e32 v16, v31, v41
	v_mul_f32_e32 v12, v30, v41
	v_fmac_f32_e32 v14, v28, v38
	v_fmac_f32_e32 v16, v30, v40
	v_fma_f32 v17, v31, v40, -v12
	v_add_u32_e32 v12, 0x2c00, v136
	v_accvgpr_write_b32 a26, v58
	v_accvgpr_write_b32 a24, v56
	;; [unrolled: 1-line block ×11, first 2 shown]
	ds_write2_b64 v12, v[14:15], v[16:17] offset0:62 offset1:209
	s_waitcnt vmcnt(0)
	v_mul_f32_e32 v14, v33, v37
	v_mul_f32_e32 v13, v32, v37
	v_accvgpr_write_b32 a2, v36
	v_accvgpr_write_b32 a29, v61
	v_accvgpr_write_b32 a27, v59
	v_accvgpr_write_b32 a25, v57
	v_accvgpr_write_b32 a21, v53
	v_accvgpr_write_b32 a19, v51
	v_accvgpr_write_b32 a23, v55
	v_accvgpr_write_b32 a15, v47
	v_accvgpr_write_b32 a17, v49
	v_accvgpr_write_b32 a11, v43
	v_accvgpr_write_b32 a13, v45
	v_accvgpr_write_b32 a5, v39
	v_accvgpr_write_b32 a7, v41
	v_fmac_f32_e32 v14, v32, v36
	v_accvgpr_write_b32 a3, v37
	v_fma_f32 v15, v33, v36, -v13
	ds_write_b64 v136, v[14:15] offset:14112
	s_and_saveexec_b64 s[14:15], s[2:3]
	s_cbranch_execz .LBB0_3
; %bb.2:
	v_mov_b32_e32 v13, 0xffffcbb8
	s_mulk_i32 s9, 0xcbb8
	v_mad_u64_u32 v[6:7], s[18:19], s8, v13, v[6:7]
	s_sub_i32 s8, s9, s8
	v_add_u32_e32 v7, s8, v7
	v_accvgpr_read_b32 v25, a1
	global_load_dwordx2 v[14:15], v[6:7], off
	v_accvgpr_read_b32 v24, a0
	v_lshl_add_u64 v[6:7], v[6:7], 0, s[12:13]
	global_load_dwordx2 v[16:17], v[24:25], off offset:728
	global_load_dwordx2 v[18:19], v[6:7], off
	global_load_dwordx2 v[20:21], v[24:25], off offset:1904
	v_lshl_add_u64 v[6:7], v[6:7], 0, s[12:13]
	global_load_dwordx2 v[22:23], v[6:7], off
	s_nop 0
	global_load_dwordx2 v[24:25], v[24:25], off offset:3080
	s_nop 0
	global_load_dwordx2 v[26:27], v[0:1], off offset:160
	v_lshl_add_u64 v[6:7], v[6:7], 0, s[12:13]
	global_load_dwordx2 v[28:29], v[6:7], off
	v_lshl_add_u64 v[6:7], v[6:7], 0, s[12:13]
	global_load_dwordx2 v[30:31], v[6:7], off
	global_load_dwordx2 v[32:33], v[0:1], off offset:1336
	v_lshl_add_u64 v[6:7], v[6:7], 0, s[12:13]
	global_load_dwordx2 v[34:35], v[6:7], off
	global_load_dwordx2 v[36:37], v[0:1], off offset:2512
	;; [unrolled: 3-line block ×3, first 2 shown]
	global_load_dwordx2 v[42:43], v[2:3], off offset:768
	v_lshl_add_u64 v[0:1], v[6:7], 0, s[12:13]
	global_load_dwordx2 v[6:7], v[0:1], off
	v_lshl_add_u64 v[0:1], v[0:1], 0, s[12:13]
	global_load_dwordx2 v[44:45], v[0:1], off
	global_load_dwordx2 v[46:47], v[2:3], off offset:1944
	v_lshl_add_u64 v[0:1], v[0:1], 0, s[12:13]
	global_load_dwordx2 v[48:49], v[0:1], off
	global_load_dwordx2 v[50:51], v[2:3], off offset:3120
	;; [unrolled: 3-line block ×3, first 2 shown]
	global_load_dwordx2 v[54:55], v[4:5], off offset:1376
	v_lshl_add_u64 v[0:1], v[0:1], 0, s[12:13]
	global_load_dwordx2 v[56:57], v[0:1], off
	global_load_dwordx2 v[58:59], v[4:5], off offset:2552
	v_lshl_add_u64 v[0:1], v[0:1], 0, s[12:13]
	global_load_dwordx2 v[0:1], v[0:1], off
	v_add_u32_e32 v13, 0xc00, v136
	v_add_u32_e32 v60, 0x1400, v136
	;; [unrolled: 1-line block ×4, first 2 shown]
	s_waitcnt vmcnt(24)
	v_mul_f32_e32 v4, v15, v17
	v_mul_f32_e32 v5, v14, v17
	v_fmac_f32_e32 v4, v14, v16
	v_fma_f32 v5, v15, v16, -v5
	s_waitcnt vmcnt(22)
	v_mul_f32_e32 v14, v19, v21
	v_mul_f32_e32 v15, v18, v21
	v_fmac_f32_e32 v14, v18, v20
	v_fma_f32 v15, v19, v20, -v15
	s_waitcnt vmcnt(20)
	v_mul_f32_e32 v16, v23, v25
	v_mul_f32_e32 v17, v22, v25
	ds_write2_b64 v136, v[4:5], v[14:15] offset0:91 offset1:238
	s_waitcnt vmcnt(18)
	v_mul_f32_e32 v4, v29, v27
	v_mul_f32_e32 v5, v28, v27
	v_fmac_f32_e32 v16, v22, v24
	v_fma_f32 v17, v23, v24, -v17
	v_fmac_f32_e32 v4, v28, v26
	v_fma_f32 v5, v29, v26, -v5
	s_waitcnt vmcnt(16)
	v_mul_f32_e32 v14, v31, v33
	v_mul_f32_e32 v15, v30, v33
	ds_write2_b64 v13, v[16:17], v[4:5] offset0:1 offset1:148
	s_waitcnt vmcnt(14)
	v_mul_f32_e32 v4, v35, v37
	v_mul_f32_e32 v5, v34, v37
	v_fmac_f32_e32 v14, v30, v32
	v_fma_f32 v15, v31, v32, -v15
	;; [unrolled: 11-line block ×3, first 2 shown]
	v_fmac_f32_e32 v4, v6, v42
	v_fma_f32 v5, v7, v42, -v5
	s_waitcnt vmcnt(4)
	v_mul_f32_e32 v14, v3, v53
	v_mul_f32_e32 v6, v45, v47
	;; [unrolled: 1-line block ×3, first 2 shown]
	ds_write2_b64 v61, v[16:17], v[4:5] offset0:77 offset1:224
	v_mul_f32_e32 v4, v49, v51
	v_mul_f32_e32 v5, v48, v51
	v_fmac_f32_e32 v14, v2, v52
	v_mul_f32_e32 v2, v2, v53
	v_fmac_f32_e32 v6, v44, v46
	v_fma_f32 v7, v45, v46, -v7
	v_fmac_f32_e32 v4, v48, v50
	v_fma_f32 v5, v49, v50, -v5
	v_fma_f32 v15, v3, v52, -v2
	s_waitcnt vmcnt(2)
	v_mul_f32_e32 v2, v57, v55
	v_mul_f32_e32 v3, v56, v55
	ds_write2_b64 v62, v[6:7], v[4:5] offset0:51 offset1:198
	v_fmac_f32_e32 v2, v56, v54
	v_fma_f32 v3, v57, v54, -v3
	v_add_u32_e32 v4, 0x3000, v136
	ds_write2_b64 v4, v[14:15], v[2:3] offset0:25 offset1:172
	s_waitcnt vmcnt(0)
	v_mul_f32_e32 v2, v1, v59
	v_fmac_f32_e32 v2, v0, v58
	v_mul_f32_e32 v0, v0, v59
	v_fma_f32 v3, v1, v58, -v0
	ds_write_b64 v136, v[2:3] offset:14840
.LBB0_3:
	s_or_b64 exec, exec, s[14:15]
	s_waitcnt lgkmcnt(0)
	s_barrier
	ds_read2_b64 v[32:35], v136 offset1:147
	ds_read2_b64 v[52:55], v8 offset0:38 offset1:185
	ds_read2_b64 v[48:51], v9 offset0:76 offset1:223
	;; [unrolled: 1-line block ×5, first 2 shown]
	ds_read_b64 v[250:251], v136 offset:14112
	s_load_dwordx2 s[0:1], s[0:1], 0x8
	v_mov_b64_e32 v[8:9], 0
                                        ; implicit-def: $vgpr6
                                        ; implicit-def: $vgpr20
                                        ; implicit-def: $vgpr18
                                        ; implicit-def: $vgpr28
                                        ; implicit-def: $vgpr26
                                        ; implicit-def: $vgpr0
	s_and_saveexec_b64 s[8:9], s[2:3]
	s_cbranch_execz .LBB0_5
; %bb.4:
	v_add_u32_e32 v0, 0xc00, v136
	ds_read2_b64 v[24:27], v0 offset0:1 offset1:148
	v_add_u32_e32 v0, 0x1400, v136
	ds_read2_b64 v[16:19], v0 offset0:39 offset1:186
	;; [unrolled: 2-line block ×5, first 2 shown]
	ds_read2_b64 v[28:31], v0 offset0:25 offset1:172
	ds_read_b64 v[0:1], v136 offset:14840
.LBB0_5:
	s_or_b64 exec, exec, s[8:9]
	s_mov_b64 s[8:9], 0x5b
	v_lshl_add_u64 v[2:3], v[70:71], 0, s[8:9]
	s_waitcnt lgkmcnt(0)
	v_pk_add_f32 v[88:89], v[24:25], v[30:31] neg_lo:[0,1] neg_hi:[0,1]
	s_mov_b32 s18, 0x3f7e222b
	v_accvgpr_write_b32 a60, v2
	s_mov_b32 s8, 0x3df6dbef
	v_pk_add_f32 v[58:59], v[30:31], v[24:25]
	v_pk_add_f32 v[96:97], v[26:27], v[28:29] neg_lo:[0,1] neg_hi:[0,1]
	v_pk_mul_f32 v[2:3], v[88:89], s[18:19] op_sel:[1,0] op_sel_hi:[0,0]
	s_mov_b32 s38, 0xbf52af12
	v_accvgpr_write_b32 a47, v1
	v_pk_add_f32 v[12:13], v[10:11], v[0:1] neg_lo:[0,1] neg_hi:[0,1]
	s_mov_b32 s34, 0xbf7e222b
	v_pk_add_f32 v[62:63], v[28:29], v[26:27]
	v_pk_fma_f32 v[100:101], v[58:59], s[8:9], v[2:3] op_sel_hi:[1,0,1]
	v_pk_fma_f32 v[60:61], v[58:59], s[8:9], v[2:3] op_sel_hi:[1,0,1] neg_lo:[0,0,1] neg_hi:[0,0,1]
	s_mov_b32 s24, 0x3f116cb1
	v_pk_mul_f32 v[2:3], v[96:97], s[38:39] op_sel:[1,0] op_sel_hi:[0,0]
	s_mov_b32 s42, 0xbeedf032
	v_pk_add_f32 v[90:91], v[32:33], v[34:35]
	v_pk_add_f32 v[224:225], v[250:251], v[34:35]
	v_pk_add_f32 v[86:87], v[34:35], v[250:251] neg_lo:[0,1] neg_hi:[0,1]
	v_pk_add_f32 v[34:35], v[0:1], v[10:11]
	v_accvgpr_write_b32 a46, v0
	v_pk_mul_f32 v[0:1], v[12:13], s[34:35] op_sel_hi:[1,0]
	s_mov_b32 s14, 0xbf6f5d39
	v_pk_fma_f32 v[104:105], v[62:63], s[24:25], v[2:3] op_sel_hi:[1,0,1]
	v_pk_fma_f32 v[74:75], v[62:63], s[24:25], v[2:3] op_sel_hi:[1,0,1] neg_lo:[0,0,1] neg_hi:[0,0,1]
	v_accvgpr_write_b32 a45, v7
	s_mov_b32 s26, 0x3f62ad3f
	v_pk_mul_f32 v[2:3], v[12:13], s[42:43] op_sel_hi:[1,0]
	v_pk_fma_f32 v[76:77], v[34:35], s[8:9], v[0:1] op_sel:[0,0,1] op_sel_hi:[1,0,0]
	v_pk_fma_f32 v[72:73], v[34:35], s[8:9], v[0:1] op_sel:[0,0,1] op_sel_hi:[1,0,0] neg_lo:[0,0,1] neg_hi:[0,0,1]
	s_mov_b32 s12, 0xbeb58ec6
	v_pk_mul_f32 v[0:1], v[12:13], s[14:15] op_sel_hi:[1,0]
	s_mov_b32 s40, 0x3f29c268
	v_pk_add_f32 v[64:65], v[6:7], v[4:5]
	v_accvgpr_write_b32 a44, v6
	v_accvgpr_write_b32 a43, v5
	;; [unrolled: 1-line block ×3, first 2 shown]
	v_pk_add_f32 v[110:111], v[4:5], v[6:7] neg_lo:[0,1] neg_hi:[0,1]
	v_pk_fma_f32 v[4:5], v[34:35], s[26:27], v[2:3] op_sel:[0,0,1] op_sel_hi:[1,0,0]
	v_pk_fma_f32 v[82:83], v[34:35], s[12:13], v[0:1] op_sel:[0,0,1] op_sel_hi:[1,0,0]
	v_pk_fma_f32 v[14:15], v[34:35], s[12:13], v[0:1] op_sel:[0,0,1] op_sel_hi:[1,0,0] neg_lo:[0,0,1] neg_hi:[0,0,1]
	s_mov_b32 s20, 0xbf3f9e67
	v_pk_mul_f32 v[0:1], v[88:89], s[40:41] op_sel:[1,0] op_sel_hi:[0,0]
	s_mov_b32 s22, 0xbf29c268
	v_pk_fma_f32 v[94:95], v[34:35], s[26:27], v[2:3] op_sel:[0,0,1] op_sel_hi:[1,0,0] neg_lo:[0,0,1] neg_hi:[0,0,1]
	v_accvgpr_write_b32 a31, v5
	v_mov_b32_e32 v2, v4
	v_pk_mul_f32 v[4:5], v[12:13], s[38:39] op_sel_hi:[1,0]
	v_pk_fma_f32 v[78:79], v[58:59], s[20:21], v[0:1] op_sel_hi:[1,0,1]
	v_pk_fma_f32 v[56:57], v[58:59], s[20:21], v[0:1] op_sel_hi:[1,0,1] neg_lo:[0,0,1] neg_hi:[0,0,1]
	v_pk_mul_f32 v[0:1], v[12:13], s[22:23] op_sel_hi:[1,0]
	v_accvgpr_write_b32 a49, v13
	v_pk_fma_f32 v[102:103], v[34:35], s[24:25], v[4:5] op_sel:[0,0,1] op_sel_hi:[1,0,0] neg_lo:[0,0,1] neg_hi:[0,0,1]
	v_accvgpr_write_b32 a48, v12
	v_pk_fma_f32 v[6:7], v[34:35], s[24:25], v[4:5] op_sel:[0,0,1] op_sel_hi:[1,0,0]
	v_mov_b32_e32 v5, v103
	v_mov_b32_e32 v103, v83
	;; [unrolled: 1-line block ×3, first 2 shown]
	v_pk_fma_f32 v[12:13], v[34:35], s[20:21], v[0:1] op_sel:[0,0,1] op_sel_hi:[1,0,0]
	v_pk_mul_f32 v[98:99], v[88:89], s[38:39] op_sel:[1,0] op_sel_hi:[0,0]
	v_mov_b32_e32 v3, v95
	v_pk_add_f32 v[92:93], v[82:83], v[8:9]
	v_pk_fma_f32 v[82:83], v[34:35], s[20:21], v[0:1] op_sel:[0,0,1] op_sel_hi:[1,0,0] neg_lo:[0,0,1] neg_hi:[0,0,1]
	v_accvgpr_write_b32 a61, v13
	v_mov_b32_e32 v0, v12
	v_pk_fma_f32 v[12:13], v[58:59], s[24:25], v[98:99] op_sel_hi:[1,0,1]
	v_pk_fma_f32 v[118:119], v[58:59], s[24:25], v[98:99] op_sel_hi:[1,0,1] neg_lo:[0,0,1] neg_hi:[0,0,1]
	v_pk_add_f32 v[2:3], v[2:3], v[8:9]
	v_mov_b32_e32 v98, v12
	v_mov_b32_e32 v99, v119
	v_pk_add_f32 v[2:3], v[98:99], v[2:3]
	v_pk_mul_f32 v[98:99], v[88:89], s[14:15] op_sel:[1,0] op_sel_hi:[0,0]
	v_mov_b32_e32 v4, v6
	v_accvgpr_write_b32 a55, v13
	v_pk_fma_f32 v[12:13], v[58:59], s[12:13], v[98:99] op_sel_hi:[1,0,1]
	v_pk_fma_f32 v[122:123], v[58:59], s[12:13], v[98:99] op_sel_hi:[1,0,1] neg_lo:[0,0,1] neg_hi:[0,0,1]
	v_pk_add_f32 v[4:5], v[4:5], v[8:9]
	v_mov_b32_e32 v98, v12
	v_mov_b32_e32 v99, v123
	s_mov_b32 s30, 0xbe750f2a
	v_pk_add_f32 v[4:5], v[98:99], v[4:5]
	s_mov_b32 s28, 0xbf788fa5
	v_pk_mul_f32 v[98:99], v[88:89], s[30:31] op_sel:[1,0] op_sel_hi:[0,0]
	v_accvgpr_write_b32 a51, v7
	v_mov_b32_e32 v6, v76
	v_mov_b32_e32 v7, v73
	v_accvgpr_write_b32 a57, v13
	v_pk_fma_f32 v[12:13], v[58:59], s[28:29], v[98:99] op_sel_hi:[1,0,1]
	v_pk_fma_f32 v[114:115], v[58:59], s[28:29], v[98:99] op_sel_hi:[1,0,1] neg_lo:[0,0,1] neg_hi:[0,0,1]
	v_pk_add_f32 v[6:7], v[6:7], v[8:9]
	v_mov_b32_e32 v98, v12
	v_mov_b32_e32 v99, v115
	;; [unrolled: 1-line block ×3, first 2 shown]
	v_pk_add_f32 v[6:7], v[98:99], v[6:7]
	v_mov_b32_e32 v98, v78
	v_mov_b32_e32 v99, v57
	v_pk_add_f32 v[0:1], v[0:1], v[8:9]
	v_pk_add_f32 v[92:93], v[98:99], v[92:93]
	v_mov_b32_e32 v98, v100
	v_mov_b32_e32 v99, v61
	v_pk_add_f32 v[0:1], v[98:99], v[0:1]
	v_pk_mul_f32 v[98:99], v[96:97], s[34:35] op_sel:[1,0] op_sel_hi:[0,0]
	v_accvgpr_write_b32 a53, v13
	v_pk_fma_f32 v[12:13], v[62:63], s[8:9], v[98:99] op_sel_hi:[1,0,1]
	v_pk_fma_f32 v[176:177], v[62:63], s[8:9], v[98:99] op_sel_hi:[1,0,1] neg_lo:[0,0,1] neg_hi:[0,0,1]
	v_mov_b32_e32 v98, v12
	v_mov_b32_e32 v99, v177
	v_pk_add_f32 v[2:3], v[98:99], v[2:3]
	v_pk_mul_f32 v[98:99], v[96:97], s[30:31] op_sel:[1,0] op_sel_hi:[0,0]
	v_accvgpr_write_b32 a67, v13
	v_pk_fma_f32 v[12:13], v[62:63], s[28:29], v[98:99] op_sel_hi:[1,0,1]
	v_pk_fma_f32 v[172:173], v[62:63], s[28:29], v[98:99] op_sel_hi:[1,0,1] neg_lo:[0,0,1] neg_hi:[0,0,1]
	v_mov_b32_e32 v98, v12
	v_mov_b32_e32 v99, v173
	s_mov_b32 s46, 0x3f6f5d39
	v_pk_add_f32 v[4:5], v[98:99], v[4:5]
	v_pk_mul_f32 v[98:99], v[96:97], s[46:47] op_sel:[1,0] op_sel_hi:[0,0]
	v_accvgpr_write_b32 a65, v13
	v_pk_fma_f32 v[12:13], v[62:63], s[12:13], v[98:99] op_sel_hi:[1,0,1]
	v_pk_fma_f32 v[132:133], v[62:63], s[12:13], v[98:99] op_sel_hi:[1,0,1] neg_lo:[0,0,1] neg_hi:[0,0,1]
	v_mov_b32_e32 v98, v12
	v_mov_b32_e32 v99, v133
	s_mov_b32 s36, 0x3eedf032
	v_pk_add_f32 v[6:7], v[98:99], v[6:7]
	v_pk_mul_f32 v[98:99], v[96:97], s[36:37] op_sel:[1,0] op_sel_hi:[0,0]
	v_accvgpr_write_b32 a63, v13
	v_pk_fma_f32 v[12:13], v[62:63], s[26:27], v[98:99] op_sel_hi:[1,0,1]
	v_pk_fma_f32 v[126:127], v[62:63], s[26:27], v[98:99] op_sel_hi:[1,0,1] neg_lo:[0,0,1] neg_hi:[0,0,1]
	v_mov_b32_e32 v98, v12
	v_mov_b32_e32 v99, v127
	v_pk_add_f32 v[106:107], v[16:17], v[22:23] neg_lo:[0,1] neg_hi:[0,1]
	v_pk_add_f32 v[92:93], v[98:99], v[92:93]
	v_mov_b32_e32 v98, v104
	v_mov_b32_e32 v99, v75
	v_pk_add_f32 v[68:69], v[22:23], v[16:17]
	v_pk_add_f32 v[0:1], v[98:99], v[0:1]
	v_pk_mul_f32 v[98:99], v[106:107], s[14:15] op_sel:[1,0] op_sel_hi:[0,0]
	v_accvgpr_write_b32 a59, v13
	v_pk_fma_f32 v[12:13], v[68:69], s[12:13], v[98:99] op_sel_hi:[1,0,1]
	v_pk_fma_f32 v[192:193], v[68:69], s[12:13], v[98:99] op_sel_hi:[1,0,1] neg_lo:[0,0,1] neg_hi:[0,0,1]
	v_mov_b32_e32 v98, v12
	v_mov_b32_e32 v99, v193
	v_pk_add_f32 v[2:3], v[98:99], v[2:3]
	v_pk_mul_f32 v[98:99], v[106:107], s[40:41] op_sel:[1,0] op_sel_hi:[0,0]
	v_mov_b32_e32 v133, v13
	v_pk_fma_f32 v[12:13], v[68:69], s[20:21], v[98:99] op_sel_hi:[1,0,1]
	v_pk_fma_f32 v[196:197], v[68:69], s[20:21], v[98:99] op_sel_hi:[1,0,1] neg_lo:[0,0,1] neg_hi:[0,0,1]
	v_mov_b32_e32 v98, v12
	v_mov_b32_e32 v99, v197
	v_pk_add_f32 v[4:5], v[98:99], v[4:5]
	v_pk_mul_f32 v[98:99], v[106:107], s[36:37] op_sel:[1,0] op_sel_hi:[0,0]
	v_accvgpr_write_b32 a73, v13
	v_pk_fma_f32 v[12:13], v[68:69], s[26:27], v[98:99] op_sel_hi:[1,0,1]
	v_pk_fma_f32 v[188:189], v[68:69], s[26:27], v[98:99] op_sel_hi:[1,0,1] neg_lo:[0,0,1] neg_hi:[0,0,1]
	v_mov_b32_e32 v98, v12
	v_mov_b32_e32 v99, v189
	v_pk_add_f32 v[6:7], v[98:99], v[6:7]
	v_pk_mul_f32 v[98:99], v[106:107], s[34:35] op_sel:[1,0] op_sel_hi:[0,0]
	v_mov_b32_e32 v127, v13
	v_pk_fma_f32 v[12:13], v[68:69], s[8:9], v[98:99] op_sel_hi:[1,0,1]
	v_pk_fma_f32 v[184:185], v[68:69], s[8:9], v[98:99] op_sel_hi:[1,0,1] neg_lo:[0,0,1] neg_hi:[0,0,1]
	v_mov_b32_e32 v98, v12
	v_mov_b32_e32 v99, v185
	s_mov_b32 s48, 0x3e750f2a
	v_pk_add_f32 v[92:93], v[98:99], v[92:93]
	v_pk_mul_f32 v[98:99], v[106:107], s[48:49] op_sel:[1,0] op_sel_hi:[0,0]
	v_accvgpr_write_b32 a71, v13
	v_pk_fma_f32 v[12:13], v[68:69], s[28:29], v[98:99] op_sel_hi:[1,0,1]
	v_pk_fma_f32 v[180:181], v[68:69], s[28:29], v[98:99] op_sel_hi:[1,0,1] neg_lo:[0,0,1] neg_hi:[0,0,1]
	v_pk_add_f32 v[108:109], v[18:19], v[20:21] neg_lo:[0,1] neg_hi:[0,1]
	v_mov_b32_e32 v98, v12
	v_mov_b32_e32 v99, v181
	v_pk_add_f32 v[66:67], v[20:21], v[18:19]
	v_pk_add_f32 v[0:1], v[98:99], v[0:1]
	v_pk_mul_f32 v[98:99], v[108:109], s[22:23] op_sel:[1,0] op_sel_hi:[0,0]
	v_accvgpr_write_b32 a69, v13
	v_pk_fma_f32 v[12:13], v[66:67], s[20:21], v[98:99] op_sel_hi:[1,0,1]
	v_pk_fma_f32 v[218:219], v[66:67], s[20:21], v[98:99] op_sel_hi:[1,0,1] neg_lo:[0,0,1] neg_hi:[0,0,1]
	v_mov_b32_e32 v98, v12
	v_mov_b32_e32 v99, v219
	v_pk_add_f32 v[2:3], v[98:99], v[2:3]
	v_pk_mul_f32 v[98:99], v[108:109], s[18:19] op_sel:[1,0] op_sel_hi:[0,0]
	v_mov_b32_e32 v173, v13
	v_pk_fma_f32 v[12:13], v[66:67], s[8:9], v[98:99] op_sel_hi:[1,0,1]
	v_pk_fma_f32 v[228:229], v[66:67], s[8:9], v[98:99] op_sel_hi:[1,0,1] neg_lo:[0,0,1] neg_hi:[0,0,1]
	v_mov_b32_e32 v98, v12
	v_mov_b32_e32 v99, v229
	v_pk_add_f32 v[4:5], v[98:99], v[4:5]
	v_pk_mul_f32 v[98:99], v[108:109], s[38:39] op_sel:[1,0] op_sel_hi:[0,0]
	v_mov_b32_e32 v189, v13
	;; [unrolled: 7-line block ×4, first 2 shown]
	v_pk_fma_f32 v[12:13], v[66:67], s[26:27], v[98:99] op_sel_hi:[1,0,1]
	v_pk_fma_f32 v[200:201], v[66:67], s[26:27], v[98:99] op_sel_hi:[1,0,1] neg_lo:[0,0,1] neg_hi:[0,0,1]
	v_mov_b32_e32 v98, v12
	v_mov_b32_e32 v99, v201
	v_pk_add_f32 v[98:99], v[98:99], v[0:1]
	v_pk_mul_f32 v[0:1], v[110:111], s[30:31] op_sel:[1,0] op_sel_hi:[0,0]
	v_accvgpr_write_b32 a75, v13
	v_pk_fma_f32 v[12:13], v[64:65], s[28:29], v[0:1] op_sel_hi:[1,0,1]
	v_pk_fma_f32 v[236:237], v[64:65], s[28:29], v[0:1] op_sel_hi:[1,0,1] neg_lo:[0,0,1] neg_hi:[0,0,1]
	v_mov_b32_e32 v0, v12
	v_mov_b32_e32 v1, v237
	v_pk_add_f32 v[222:223], v[38:39], v[52:53]
	v_pk_add_f32 v[84:85], v[52:53], v[38:39] neg_lo:[0,1] neg_hi:[0,1]
	v_pk_add_f32 v[0:1], v[0:1], v[2:3]
	v_pk_add_f32 v[52:53], v[90:91], v[52:53]
	v_accvgpr_write_b32 a33, v1
	v_pk_add_f32 v[52:53], v[52:53], v[54:55]
	v_pk_add_f32 v[210:211], v[42:43], v[48:49]
	v_pk_add_f32 v[170:171], v[48:49], v[42:43] neg_lo:[0,1] neg_hi:[0,1]
	v_accvgpr_write_b32 a32, v0
	v_pk_mul_f32 v[0:1], v[110:111], s[36:37] op_sel:[1,0] op_sel_hi:[0,0]
	v_pk_add_f32 v[48:49], v[52:53], v[48:49]
	v_pk_fma_f32 v[2:3], v[64:65], s[26:27], v[0:1] op_sel_hi:[1,0,1]
	v_pk_fma_f32 v[240:241], v[64:65], s[26:27], v[0:1] op_sel_hi:[1,0,1] neg_lo:[0,0,1] neg_hi:[0,0,1]
	v_pk_add_f32 v[48:49], v[48:49], v[50:51]
	v_pk_add_f32 v[206:207], v[46:47], v[44:45]
	v_pk_add_f32 v[252:253], v[44:45], v[46:47] neg_lo:[0,1] neg_hi:[0,1]
	v_mov_b32_e32 v0, v2
	v_mov_b32_e32 v1, v241
	v_pk_add_f32 v[44:45], v[48:49], v[44:45]
	v_mov_b32_e32 v205, v3
	v_pk_add_f32 v[2:3], v[0:1], v[4:5]
	v_pk_mul_f32 v[0:1], v[110:111], s[22:23] op_sel:[1,0] op_sel_hi:[0,0]
	v_pk_add_f32 v[44:45], v[44:45], v[46:47]
	v_pk_add_f32 v[208:209], v[40:41], v[50:51]
	v_pk_add_f32 v[254:255], v[50:51], v[40:41] neg_lo:[0,1] neg_hi:[0,1]
	v_pk_fma_f32 v[4:5], v[64:65], s[20:21], v[0:1] op_sel_hi:[1,0,1]
	v_pk_fma_f32 v[232:233], v[64:65], s[20:21], v[0:1] op_sel_hi:[1,0,1] neg_lo:[0,0,1] neg_hi:[0,0,1]
	v_pk_add_f32 v[40:41], v[44:45], v[40:41]
	v_mov_b32_e32 v0, v4
	v_mov_b32_e32 v1, v233
	s_mov_b32 s44, 0x3f52af12
	v_pk_add_f32 v[40:41], v[40:41], v[42:43]
	v_pk_add_f32 v[220:221], v[36:37], v[54:55]
	v_pk_add_f32 v[80:81], v[54:55], v[36:37] neg_lo:[0,1] neg_hi:[0,1]
	v_mov_b32_e32 v201, v5
	v_pk_add_f32 v[0:1], v[0:1], v[6:7]
	v_pk_mul_f32 v[4:5], v[110:111], s[44:45] op_sel:[1,0] op_sel_hi:[0,0]
	v_accvgpr_write_b32 a37, v3
	v_pk_add_f32 v[36:37], v[40:41], v[36:37]
	v_accvgpr_write_b32 a36, v2
	v_accvgpr_write_b32 a35, v1
	;; [unrolled: 1-line block ×3, first 2 shown]
	v_pk_fma_f32 v[0:1], v[64:65], s[24:25], v[4:5] op_sel_hi:[1,0,1]
	v_pk_fma_f32 v[248:249], v[64:65], s[24:25], v[4:5] op_sel_hi:[1,0,1] neg_lo:[0,0,1] neg_hi:[0,0,1]
	v_pk_add_f32 v[36:37], v[36:37], v[38:39]
	v_mov_b32_e32 v39, v225
	v_mov_b32_e32 v225, v86
	s_mov_b32 s27, s42
	v_mov_b32_e32 v4, v0
	v_mov_b32_e32 v5, v249
	v_mov_b32_e32 v38, v87
	s_mov_b32 s43, s26
	v_pk_mul_f32 v[42:43], v[224:225], s[26:27]
	v_pk_add_f32 v[2:3], v[4:5], v[92:93]
	v_pk_add_f32 v[92:93], v[36:37], v[250:251]
	v_pk_fma_f32 v[36:37], v[38:39], s[42:43], v[42:43] neg_lo:[1,0,0] neg_hi:[1,0,0]
	v_pk_fma_f32 v[40:41], v[38:39], s[42:43], v[42:43]
	s_mov_b32 s25, s38
	v_mov_b32_e32 v37, v41
	v_pk_add_f32 v[48:49], v[32:33], v[36:37]
	v_mov_b32_e32 v37, v223
	v_mov_b32_e32 v223, v84
	v_mov_b32_e32 v36, v85
	s_mov_b32 s39, s24
	v_pk_mul_f32 v[46:47], v[222:223], s[24:25]
	s_mov_b32 s9, s34
	v_pk_fma_f32 v[50:51], v[36:37], s[38:39], v[46:47] neg_lo:[1,0,0] neg_hi:[1,0,0]
	v_pk_fma_f32 v[44:45], v[36:37], s[38:39], v[46:47]
	s_mov_b32 s35, s8
	v_mov_b32_e32 v51, v45
	v_pk_add_f32 v[54:55], v[50:51], v[48:49]
	v_mov_b32_e32 v49, v221
	v_mov_b32_e32 v221, v80
	;; [unrolled: 1-line block ×3, first 2 shown]
	v_pk_mul_f32 v[52:53], v[220:221], s[8:9]
	v_pk_mul_f32 v[4:5], v[110:111], s[14:15] op_sel:[1,0] op_sel_hi:[0,0]
	v_pk_fma_f32 v[80:81], v[48:49], s[34:35], v[52:53] neg_lo:[1,0,0] neg_hi:[1,0,0]
	v_pk_fma_f32 v[50:51], v[48:49], s[34:35], v[52:53]
	v_accvgpr_write_b32 a79, v1
	v_mov_b32_e32 v81, v51
	v_pk_fma_f32 v[0:1], v[64:65], s[12:13], v[4:5] op_sel_hi:[1,0,1]
	v_pk_fma_f32 v[244:245], v[64:65], s[12:13], v[4:5] op_sel_hi:[1,0,1] neg_lo:[0,0,1] neg_hi:[0,0,1]
	v_pk_add_f32 v[86:87], v[80:81], v[54:55]
	v_mov_b32_e32 v55, v211
	v_mov_b32_e32 v211, v170
	s_mov_b32 s13, s14
	v_mov_b32_e32 v54, v171
	s_mov_b32 s15, s12
	v_pk_mul_f32 v[84:85], v[210:211], s[12:13]
	v_mov_b32_e32 v4, v0
	v_pk_fma_f32 v[90:91], v[54:55], s[14:15], v[84:85] neg_lo:[1,0,0] neg_hi:[1,0,0]
	v_pk_fma_f32 v[80:81], v[54:55], s[14:15], v[84:85]
	v_mov_b32_e32 v5, v245
	v_mov_b32_e32 v91, v81
	v_accvgpr_write_b32 a77, v1
	v_pk_add_f32 v[0:1], v[4:5], v[98:99]
	v_pk_add_f32 v[98:99], v[90:91], v[86:87]
	v_mov_b32_e32 v87, v209
	v_mov_b32_e32 v209, v254
	s_mov_b32 s21, s22
	v_mov_b32_e32 v86, v255
	s_mov_b32 s23, s20
	v_pk_mul_f32 v[170:171], v[208:209], s[20:21]
	v_mov_b32_e32 v123, v105
	v_pk_fma_f32 v[104:105], v[86:87], s[22:23], v[170:171] neg_lo:[1,0,0] neg_hi:[1,0,0]
	v_pk_fma_f32 v[90:91], v[86:87], s[22:23], v[170:171]
	v_mov_b32_e32 v251, v207
	v_mov_b32_e32 v207, v252
	s_mov_b32 s29, s30
	v_mov_b32_e32 v105, v91
	v_mov_b32_e32 v250, v253
	s_mov_b32 s31, s28
	v_pk_mul_f32 v[254:255], v[206:207], s[28:29]
	v_accvgpr_write_b32 a41, v3
	v_pk_add_f32 v[98:99], v[104:105], v[98:99]
	v_pk_fma_f32 v[104:105], v[250:251], s[30:31], v[254:255] neg_lo:[1,0,0] neg_hi:[1,0,0]
	v_pk_fma_f32 v[252:253], v[250:251], s[30:31], v[254:255]
	v_accvgpr_write_b32 a40, v2
	v_accvgpr_write_b32 a39, v1
	;; [unrolled: 1-line block ×3, first 2 shown]
	v_mul_lo_u16_e32 v0, 13, v70
	v_mov_b32_e32 v105, v253
	v_lshlrev_b32_e32 v137, 3, v0
	v_pk_add_f32 v[98:99], v[104:105], v[98:99]
	v_pk_mul_f32 v[116:117], v[224:225], s[24:25]
	s_barrier
	ds_write2_b64 v137, v[92:93], v[98:99] offset1:1
	v_pk_fma_f32 v[92:93], v[38:39], s[38:39], v[116:117] neg_lo:[1,0,0] neg_hi:[1,0,0]
	v_pk_fma_f32 v[112:113], v[38:39], s[38:39], v[116:117]
	v_pk_mul_f32 v[120:121], v[222:223], s[12:13]
	v_mov_b32_e32 v93, v113
	v_pk_add_f32 v[98:99], v[32:33], v[92:93]
	v_pk_fma_f32 v[104:105], v[36:37], s[14:15], v[120:121] neg_lo:[1,0,0] neg_hi:[1,0,0]
	v_pk_fma_f32 v[92:93], v[36:37], s[14:15], v[120:121]
	s_mov_b32 s52, s20
	v_mov_b32_e32 v105, v93
	v_pk_add_f32 v[124:125], v[104:105], v[98:99]
	v_pk_mul_f32 v[104:105], v[220:221], s[28:29]
	s_mov_b32 s53, s40
	v_pk_fma_f32 v[128:129], v[48:49], s[30:31], v[104:105] neg_lo:[1,0,0] neg_hi:[1,0,0]
	v_pk_fma_f32 v[98:99], v[48:49], s[30:31], v[104:105]
	s_mov_b32 s41, s20
	v_mov_b32_e32 v129, v99
	v_pk_add_f32 v[130:131], v[128:129], v[124:125]
	v_pk_mul_f32 v[128:129], v[210:211], s[52:53]
	s_mov_b32 s50, s8
	v_pk_fma_f32 v[134:135], v[54:55], s[40:41], v[128:129] neg_lo:[1,0,0] neg_hi:[1,0,0]
	v_pk_fma_f32 v[124:125], v[54:55], s[40:41], v[128:129]
	s_mov_b32 s51, s18
	v_mov_b32_e32 v135, v125
	v_pk_add_f32 v[140:141], v[134:135], v[130:131]
	s_mov_b32 s19, s8
	v_pk_mul_f32 v[134:135], v[208:209], s[50:51]
	s_mov_b32 s27, s36
	v_pk_fma_f32 v[142:143], v[86:87], s[18:19], v[134:135] neg_lo:[1,0,0] neg_hi:[1,0,0]
	v_pk_fma_f32 v[130:131], v[86:87], s[18:19], v[134:135]
	s_mov_b32 s37, s26
	v_mov_b32_e32 v143, v131
	v_pk_mul_f32 v[178:179], v[206:207], s[26:27]
	v_pk_add_f32 v[140:141], v[142:143], v[140:141]
	v_pk_fma_f32 v[142:143], v[250:251], s[36:37], v[178:179] neg_lo:[1,0,0] neg_hi:[1,0,0]
	v_pk_fma_f32 v[174:175], v[250:251], s[36:37], v[178:179]
	v_pk_mul_f32 v[194:195], v[224:225], s[8:9]
	v_mov_b32_e32 v143, v175
	v_pk_add_f32 v[148:149], v[142:143], v[140:141]
	v_pk_fma_f32 v[140:141], v[38:39], s[34:35], v[194:195] neg_lo:[1,0,0] neg_hi:[1,0,0]
	v_pk_fma_f32 v[190:191], v[38:39], s[34:35], v[194:195]
	v_pk_mul_f32 v[186:187], v[222:223], s[28:29]
	v_mov_b32_e32 v141, v191
	v_pk_fma_f32 v[142:143], v[36:37], s[30:31], v[186:187] neg_lo:[1,0,0] neg_hi:[1,0,0]
	v_pk_fma_f32 v[182:183], v[36:37], s[30:31], v[186:187]
	s_mov_b32 s54, s12
	s_mov_b32 s55, s46
	v_pk_add_f32 v[140:141], v[32:33], v[140:141]
	v_mov_b32_e32 v143, v183
	s_mov_b32 s47, s12
	v_pk_mul_f32 v[202:203], v[220:221], s[54:55]
	v_pk_add_f32 v[140:141], v[142:143], v[140:141]
	v_pk_fma_f32 v[142:143], v[48:49], s[46:47], v[202:203] neg_lo:[1,0,0] neg_hi:[1,0,0]
	v_pk_fma_f32 v[198:199], v[48:49], s[46:47], v[202:203]
	v_pk_mul_f32 v[216:217], v[210:211], s[26:27]
	v_mov_b32_e32 v143, v199
	v_pk_add_f32 v[140:141], v[142:143], v[140:141]
	v_pk_fma_f32 v[142:143], v[54:55], s[36:37], v[216:217] neg_lo:[1,0,0] neg_hi:[1,0,0]
	v_pk_fma_f32 v[212:213], v[54:55], s[36:37], v[216:217]
	v_pk_mul_f32 v[154:155], v[222:223], s[52:53]
	v_mov_b32_e32 v143, v213
	v_pk_add_f32 v[144:145], v[142:143], v[140:141]
	v_pk_mul_f32 v[142:143], v[208:209], s[24:25]
	v_pk_fma_f32 v[156:157], v[36:37], s[40:41], v[154:155] neg_lo:[1,0,0] neg_hi:[1,0,0]
	v_pk_fma_f32 v[226:227], v[86:87], s[38:39], v[142:143] neg_lo:[1,0,0] neg_hi:[1,0,0]
	v_pk_fma_f32 v[140:141], v[86:87], s[38:39], v[142:143]
	v_pk_fma_f32 v[158:159], v[36:37], s[40:41], v[154:155]
	v_mov_b32_e32 v227, v141
	v_pk_add_f32 v[150:151], v[226:227], v[144:145]
	v_pk_mul_f32 v[226:227], v[206:207], s[20:21]
	v_mov_b32_e32 v157, v159
	v_pk_fma_f32 v[144:145], v[250:251], s[22:23], v[226:227] neg_lo:[1,0,0] neg_hi:[1,0,0]
	v_pk_fma_f32 v[152:153], v[250:251], s[22:23], v[226:227]
	s_mov_b32 s52, s28
	v_mov_b32_e32 v145, v153
	v_pk_add_f32 v[144:145], v[144:145], v[150:151]
	ds_write2_b64 v137, v[148:149], v[144:145] offset0:2 offset1:3
	v_pk_mul_f32 v[144:145], v[224:225], s[12:13]
	s_mov_b32 s53, s48
	v_pk_fma_f32 v[148:149], v[38:39], s[14:15], v[144:145] neg_lo:[1,0,0] neg_hi:[1,0,0]
	v_pk_fma_f32 v[150:151], v[38:39], s[14:15], v[144:145]
	s_mov_b32 s49, s28
	v_mov_b32_e32 v149, v151
	v_pk_add_f32 v[148:149], v[32:33], v[148:149]
	s_mov_b32 s54, s24
	v_pk_add_f32 v[148:149], v[156:157], v[148:149]
	v_pk_mul_f32 v[156:157], v[220:221], s[26:27]
	s_mov_b32 s55, s44
	v_pk_fma_f32 v[160:161], v[48:49], s[36:37], v[156:157] neg_lo:[1,0,0] neg_hi:[1,0,0]
	v_pk_fma_f32 v[162:163], v[48:49], s[36:37], v[156:157]
	s_mov_b32 s45, s24
	v_mov_b32_e32 v161, v163
	v_pk_add_f32 v[148:149], v[160:161], v[148:149]
	v_pk_mul_f32 v[160:161], v[210:211], s[8:9]
	v_mov_b32_e32 v119, v101
	v_pk_fma_f32 v[164:165], v[54:55], s[34:35], v[160:161] neg_lo:[1,0,0] neg_hi:[1,0,0]
	v_pk_fma_f32 v[166:167], v[54:55], s[34:35], v[160:161]
	v_pk_mul_f32 v[100:101], v[222:223], s[50:51]
	v_mov_b32_e32 v165, v167
	v_pk_add_f32 v[148:149], v[164:165], v[148:149]
	v_pk_mul_f32 v[164:165], v[208:209], s[52:53]
	v_pk_fma_f32 v[138:139], v[36:37], s[18:19], v[100:101] neg_lo:[1,0,0] neg_hi:[1,0,0]
	v_pk_fma_f32 v[230:231], v[86:87], s[48:49], v[164:165] neg_lo:[1,0,0] neg_hi:[1,0,0]
	v_pk_fma_f32 v[234:235], v[86:87], s[48:49], v[164:165]
	v_pk_fma_f32 v[0:1], v[36:37], s[18:19], v[100:101]
	v_mov_b32_e32 v231, v235
	v_pk_add_f32 v[148:149], v[230:231], v[148:149]
	v_pk_mul_f32 v[230:231], v[206:207], s[54:55]
	v_mov_b32_e32 v139, v1
	v_pk_fma_f32 v[238:239], v[250:251], s[44:45], v[230:231] neg_lo:[1,0,0] neg_hi:[1,0,0]
	v_pk_fma_f32 v[242:243], v[250:251], s[44:45], v[230:231]
	v_pk_mul_f32 v[6:7], v[210:211], s[52:53]
	v_mov_b32_e32 v239, v243
	v_pk_add_f32 v[148:149], v[238:239], v[148:149]
	v_pk_mul_f32 v[238:239], v[224:225], s[20:21]
	v_pk_fma_f32 v[168:169], v[54:55], s[48:49], v[6:7]
	v_pk_fma_f32 v[246:247], v[38:39], s[22:23], v[238:239] neg_lo:[1,0,0] neg_hi:[1,0,0]
	v_pk_fma_f32 v[146:147], v[38:39], s[22:23], v[238:239]
	v_accvgpr_write_b32 a52, v56
	v_mov_b32_e32 v247, v147
	v_pk_add_f32 v[246:247], v[32:33], v[246:247]
	v_accvgpr_write_b32 a54, v60
	v_pk_add_f32 v[2:3], v[138:139], v[246:247]
	v_pk_mul_f32 v[138:139], v[220:221], s[24:25]
	v_accvgpr_write_b32 a50, v14
	v_pk_fma_f32 v[246:247], v[48:49], s[38:39], v[138:139] neg_lo:[1,0,0] neg_hi:[1,0,0]
	v_pk_fma_f32 v[4:5], v[48:49], s[38:39], v[138:139]
	v_mov_b32_e32 v197, v13
	v_mov_b32_e32 v247, v5
	v_pk_add_f32 v[2:3], v[246:247], v[2:3]
	v_pk_fma_f32 v[246:247], v[54:55], s[48:49], v[6:7] neg_lo:[1,0,0] neg_hi:[1,0,0]
	v_accvgpr_write_b32 a8, v70
	v_mov_b32_e32 v247, v169
	v_pk_add_f32 v[2:3], v[246:247], v[2:3]
	v_pk_mul_f32 v[246:247], v[208:209], s[26:27]
	v_pk_mul_f32 v[222:223], v[222:223], s[26:27]
	v_pk_fma_f32 v[56:57], v[86:87], s[36:37], v[246:247] neg_lo:[1,0,0] neg_hi:[1,0,0]
	v_pk_fma_f32 v[60:61], v[86:87], s[36:37], v[246:247]
	v_accvgpr_write_b32 a9, v71
	v_mov_b32_e32 v57, v61
	v_pk_add_f32 v[2:3], v[56:57], v[2:3]
	v_pk_mul_f32 v[56:57], v[206:207], s[12:13]
	v_pk_fma_f32 v[70:71], v[36:37], s[36:37], v[222:223]
	v_pk_fma_f32 v[12:13], v[250:251], s[14:15], v[56:57] neg_lo:[1,0,0] neg_hi:[1,0,0]
	v_pk_fma_f32 v[14:15], v[250:251], s[14:15], v[56:57]
	v_pk_mul_f32 v[220:221], v[220:221], s[20:21]
	v_mov_b32_e32 v13, v15
	v_pk_add_f32 v[2:3], v[12:13], v[2:3]
	ds_write2_b64 v137, v[148:149], v[2:3] offset0:4 offset1:5
	v_pk_mul_f32 v[2:3], v[224:225], s[28:29]
	v_pk_fma_f32 v[224:225], v[36:37], s[36:37], v[222:223] neg_lo:[1,0,0] neg_hi:[1,0,0]
	v_pk_fma_f32 v[12:13], v[38:39], s[30:31], v[2:3] neg_lo:[1,0,0] neg_hi:[1,0,0]
	v_pk_fma_f32 v[148:149], v[38:39], s[30:31], v[2:3]
	v_mov_b32_e32 v225, v71
	v_mov_b32_e32 v13, v149
	v_pk_add_f32 v[12:13], v[32:33], v[12:13]
	v_pk_fma_f32 v[2:3], v[38:39], s[30:31], v[2:3] neg_lo:[0,0,1] neg_hi:[0,0,1]
	v_accvgpr_write_b32 a56, v72
	v_pk_add_f32 v[12:13], v[224:225], v[12:13]
	v_pk_fma_f32 v[224:225], v[48:49], s[22:23], v[220:221] neg_lo:[1,0,0] neg_hi:[1,0,0]
	v_pk_fma_f32 v[72:73], v[48:49], s[22:23], v[220:221]
	v_mov_b32_e32 v149, v3
	v_mov_b32_e32 v225, v73
	v_pk_mul_f32 v[210:211], v[210:211], s[54:55]
	v_pk_add_f32 v[2:3], v[32:33], v[148:149]
	v_pk_fma_f32 v[148:149], v[36:37], s[36:37], v[222:223] neg_lo:[0,0,1] neg_hi:[0,0,1]
	v_accvgpr_write_b32 a58, v74
	v_pk_add_f32 v[12:13], v[224:225], v[12:13]
	v_pk_fma_f32 v[224:225], v[54:55], s[44:45], v[210:211] neg_lo:[1,0,0] neg_hi:[1,0,0]
	v_pk_fma_f32 v[74:75], v[54:55], s[44:45], v[210:211]
	v_mov_b32_e32 v71, v149
	v_mov_b32_e32 v225, v75
	v_pk_mul_f32 v[208:209], v[208:209], s[12:13]
	v_pk_add_f32 v[2:3], v[70:71], v[2:3]
	v_pk_fma_f32 v[70:71], v[48:49], s[22:23], v[220:221] neg_lo:[0,0,1] neg_hi:[0,0,1]
	v_mov_b32_e32 v95, v77
	v_pk_add_f32 v[12:13], v[224:225], v[12:13]
	v_pk_fma_f32 v[224:225], v[86:87], s[14:15], v[208:209] neg_lo:[1,0,0] neg_hi:[1,0,0]
	v_pk_fma_f32 v[76:77], v[86:87], s[14:15], v[208:209]
	v_mov_b32_e32 v73, v71
	v_pk_fma_f32 v[70:71], v[54:55], s[44:45], v[210:211] neg_lo:[0,0,1] neg_hi:[0,0,1]
	v_mov_b32_e32 v225, v77
	v_pk_mul_f32 v[206:207], v[206:207], s[50:51]
	v_pk_add_f32 v[2:3], v[72:73], v[2:3]
	v_mov_b32_e32 v75, v71
	v_pk_fma_f32 v[70:71], v[86:87], s[14:15], v[208:209] neg_lo:[0,0,1] neg_hi:[0,0,1]
	v_mov_b32_e32 v115, v79
	v_pk_add_f32 v[12:13], v[224:225], v[12:13]
	v_pk_fma_f32 v[224:225], v[250:251], s[18:19], v[206:207] neg_lo:[1,0,0] neg_hi:[1,0,0]
	v_pk_fma_f32 v[78:79], v[250:251], s[18:19], v[206:207]
	v_pk_add_f32 v[2:3], v[74:75], v[2:3]
	v_mov_b32_e32 v77, v71
	v_pk_fma_f32 v[70:71], v[250:251], s[18:19], v[206:207] neg_lo:[0,0,1] neg_hi:[0,0,1]
	v_mov_b32_e32 v225, v79
	v_pk_add_f32 v[2:3], v[76:77], v[2:3]
	v_mov_b32_e32 v79, v71
	v_pk_add_f32 v[12:13], v[224:225], v[12:13]
	v_pk_add_f32 v[2:3], v[78:79], v[2:3]
	ds_write2_b64 v137, v[12:13], v[2:3] offset0:6 offset1:7
	v_pk_fma_f32 v[2:3], v[38:39], s[22:23], v[238:239] neg_lo:[0,0,1] neg_hi:[0,0,1]
	v_pk_fma_f32 v[12:13], v[36:37], s[18:19], v[100:101] neg_lo:[0,0,1] neg_hi:[0,0,1]
	v_mov_b32_e32 v147, v3
	v_pk_add_f32 v[2:3], v[32:33], v[146:147]
	v_mov_b32_e32 v1, v13
	v_pk_add_f32 v[0:1], v[0:1], v[2:3]
	v_pk_fma_f32 v[2:3], v[48:49], s[38:39], v[138:139] neg_lo:[0,0,1] neg_hi:[0,0,1]
	s_nop 0
	v_mov_b32_e32 v5, v3
	v_pk_fma_f32 v[2:3], v[54:55], s[48:49], v[6:7] neg_lo:[0,0,1] neg_hi:[0,0,1]
	v_pk_add_f32 v[0:1], v[4:5], v[0:1]
	v_mov_b32_e32 v169, v3
	v_pk_fma_f32 v[2:3], v[86:87], s[36:37], v[246:247] neg_lo:[0,0,1] neg_hi:[0,0,1]
	v_pk_fma_f32 v[4:5], v[36:37], s[40:41], v[154:155] neg_lo:[0,0,1] neg_hi:[0,0,1]
	v_mov_b32_e32 v61, v3
	v_pk_fma_f32 v[2:3], v[250:251], s[14:15], v[56:57] neg_lo:[0,0,1] neg_hi:[0,0,1]
	v_mov_b32_e32 v159, v5
	v_mov_b32_e32 v15, v3
	v_pk_fma_f32 v[2:3], v[38:39], s[14:15], v[144:145] neg_lo:[0,0,1] neg_hi:[0,0,1]
	v_pk_fma_f32 v[4:5], v[48:49], s[36:37], v[156:157] neg_lo:[0,0,1] neg_hi:[0,0,1]
	v_mov_b32_e32 v151, v3
	v_pk_add_f32 v[2:3], v[32:33], v[150:151]
	v_mov_b32_e32 v163, v5
	v_pk_add_f32 v[2:3], v[158:159], v[2:3]
	v_pk_fma_f32 v[4:5], v[54:55], s[34:35], v[160:161] neg_lo:[0,0,1] neg_hi:[0,0,1]
	v_pk_add_f32 v[2:3], v[162:163], v[2:3]
	v_mov_b32_e32 v167, v5
	v_pk_fma_f32 v[4:5], v[86:87], s[48:49], v[164:165] neg_lo:[0,0,1] neg_hi:[0,0,1]
	v_pk_add_f32 v[0:1], v[168:169], v[0:1]
	v_pk_add_f32 v[2:3], v[166:167], v[2:3]
	v_mov_b32_e32 v235, v5
	v_pk_fma_f32 v[4:5], v[250:251], s[44:45], v[230:231] neg_lo:[0,0,1] neg_hi:[0,0,1]
	v_pk_add_f32 v[0:1], v[60:61], v[0:1]
	v_pk_add_f32 v[2:3], v[234:235], v[2:3]
	v_mov_b32_e32 v243, v5
	v_pk_add_f32 v[0:1], v[14:15], v[0:1]
	v_pk_add_f32 v[2:3], v[242:243], v[2:3]
	ds_write2_b64 v137, v[0:1], v[2:3] offset0:8 offset1:9
	v_pk_fma_f32 v[2:3], v[36:37], s[30:31], v[186:187] neg_lo:[0,0,1] neg_hi:[0,0,1]
	v_pk_fma_f32 v[0:1], v[38:39], s[34:35], v[194:195] neg_lo:[0,0,1] neg_hi:[0,0,1]
	v_mov_b32_e32 v183, v3
	v_pk_fma_f32 v[2:3], v[48:49], s[46:47], v[202:203] neg_lo:[0,0,1] neg_hi:[0,0,1]
	v_mov_b32_e32 v191, v1
	v_mov_b32_e32 v199, v3
	v_pk_fma_f32 v[2:3], v[54:55], s[36:37], v[216:217] neg_lo:[0,0,1] neg_hi:[0,0,1]
	v_pk_fma_f32 v[4:5], v[36:37], s[14:15], v[120:121] neg_lo:[0,0,1] neg_hi:[0,0,1]
	v_mov_b32_e32 v213, v3
	v_pk_fma_f32 v[2:3], v[86:87], s[38:39], v[142:143] neg_lo:[0,0,1] neg_hi:[0,0,1]
	v_pk_add_f32 v[0:1], v[32:33], v[190:191]
	v_mov_b32_e32 v141, v3
	v_pk_fma_f32 v[2:3], v[250:251], s[22:23], v[226:227] neg_lo:[0,0,1] neg_hi:[0,0,1]
	v_mov_b32_e32 v93, v5
	v_mov_b32_e32 v153, v3
	v_pk_fma_f32 v[2:3], v[38:39], s[38:39], v[116:117] neg_lo:[0,0,1] neg_hi:[0,0,1]
	v_pk_fma_f32 v[4:5], v[48:49], s[30:31], v[104:105] neg_lo:[0,0,1] neg_hi:[0,0,1]
	v_mov_b32_e32 v113, v3
	v_pk_add_f32 v[2:3], v[32:33], v[112:113]
	v_pk_add_f32 v[0:1], v[182:183], v[0:1]
	;; [unrolled: 1-line block ×3, first 2 shown]
	v_mov_b32_e32 v99, v5
	v_pk_fma_f32 v[4:5], v[54:55], s[40:41], v[128:129] neg_lo:[0,0,1] neg_hi:[0,0,1]
	v_pk_add_f32 v[0:1], v[198:199], v[0:1]
	v_pk_add_f32 v[2:3], v[98:99], v[2:3]
	v_mov_b32_e32 v125, v5
	v_pk_fma_f32 v[4:5], v[86:87], s[18:19], v[134:135] neg_lo:[0,0,1] neg_hi:[0,0,1]
	v_pk_add_f32 v[0:1], v[212:213], v[0:1]
	v_pk_add_f32 v[2:3], v[124:125], v[2:3]
	;; [unrolled: 4-line block ×3, first 2 shown]
	v_mov_b32_e32 v175, v5
	v_pk_add_f32 v[0:1], v[152:153], v[0:1]
	v_pk_add_f32 v[2:3], v[174:175], v[2:3]
	ds_write2_b64 v137, v[0:1], v[2:3] offset0:10 offset1:11
	v_pk_fma_f32 v[0:1], v[38:39], s[42:43], v[42:43] neg_lo:[0,0,1] neg_hi:[0,0,1]
	v_pk_fma_f32 v[2:3], v[36:37], s[38:39], v[46:47] neg_lo:[0,0,1] neg_hi:[0,0,1]
	v_mov_b32_e32 v41, v1
	v_pk_add_f32 v[0:1], v[32:33], v[40:41]
	v_mov_b32_e32 v45, v3
	v_pk_fma_f32 v[2:3], v[48:49], s[34:35], v[52:53] neg_lo:[0,0,1] neg_hi:[0,0,1]
	v_pk_add_f32 v[0:1], v[44:45], v[0:1]
	v_mov_b32_e32 v51, v3
	v_pk_fma_f32 v[2:3], v[54:55], s[14:15], v[84:85] neg_lo:[0,0,1] neg_hi:[0,0,1]
	;; [unrolled: 3-line block ×4, first 2 shown]
	v_pk_add_f32 v[0:1], v[90:91], v[0:1]
	v_mov_b32_e32 v253, v3
	v_accvgpr_read_b32 v178, a60
	v_pk_add_f32 v[0:1], v[252:253], v[0:1]
	ds_write_b64 v137, v[0:1] offset:96
	v_mul_u32_u24_e32 v0, 13, v178
	v_accvgpr_write_b32 a64, v0
	s_and_saveexec_b64 s[34:35], s[2:3]
	s_cbranch_execz .LBB0_7
; %bb.6:
	v_pk_add_f32 v[10:11], v[10:11], v[8:9]
	v_accvgpr_read_b32 v14, a64
	v_pk_add_f32 v[10:11], v[24:25], v[10:11]
	v_lshlrev_b32_e32 v32, 3, v14
	v_pk_add_f32 v[10:11], v[26:27], v[10:11]
	v_mov_b32_e32 v43, v95
	v_pk_add_f32 v[10:11], v[16:17], v[10:11]
	v_accvgpr_read_b32 v14, a42
	v_pk_add_f32 v[10:11], v[18:19], v[10:11]
	v_accvgpr_read_b32 v15, a43
	v_accvgpr_read_b32 v16, a44
	v_accvgpr_read_b32 v17, a45
	v_pk_add_f32 v[10:11], v[14:15], v[10:11]
	v_accvgpr_read_b32 v14, a46
	v_pk_add_f32 v[10:11], v[16:17], v[10:11]
	v_accvgpr_read_b32 v15, a47
	;; [unrolled: 2-line block ×3, first 2 shown]
	v_pk_add_f32 v[10:11], v[22:23], v[10:11]
	v_mov_b32_e32 v41, v119
	v_pk_add_f32 v[10:11], v[28:29], v[10:11]
	v_accvgpr_read_b32 v119, a55
	v_pk_add_f32 v[10:11], v[30:31], v[10:11]
	v_accvgpr_read_b32 v177, a67
	v_pk_add_f32 v[10:11], v[14:15], v[10:11]
	v_pk_add_f32 v[14:15], v[94:95], v[8:9]
	v_mov_b32_e32 v193, v133
	v_pk_add_f32 v[14:15], v[118:119], v[14:15]
	v_mov_b32_e32 v219, v173
	;; [unrolled: 2-line block ×4, first 2 shown]
	v_pk_add_f32 v[14:15], v[218:219], v[14:15]
	v_accvgpr_read_b32 v42, a56
	v_pk_add_f32 v[14:15], v[236:237], v[14:15]
	v_accvgpr_read_b32 v103, a51
	v_mov_b32_e32 v45, v123
	v_mov_b32_e32 v39, v115
	ds_write2_b64 v32, v[10:11], v[14:15] offset1:1
	v_pk_add_f32 v[10:11], v[102:103], v[8:9]
	v_accvgpr_read_b32 v123, a57
	v_pk_add_f32 v[14:15], v[42:43], v[8:9]
	v_accvgpr_read_b32 v115, a53
	;; [unrolled: 2-line block ×5, first 2 shown]
	v_mov_b32_e32 v229, v189
	v_pk_add_f32 v[14:15], v[132:133], v[14:15]
	v_mov_b32_e32 v189, v127
	v_pk_add_f32 v[10:11], v[196:197], v[10:11]
	v_pk_add_f32 v[14:15], v[188:189], v[14:15]
	v_mov_b32_e32 v215, v185
	v_pk_add_f32 v[10:11], v[228:229], v[10:11]
	v_mov_b32_e32 v241, v205
	;; [unrolled: 2-line block ×3, first 2 shown]
	v_accvgpr_read_b32 v83, a61
	v_accvgpr_read_b32 v36, a50
	v_pk_add_f32 v[10:11], v[240:241], v[10:11]
	v_pk_add_f32 v[14:15], v[232:233], v[14:15]
	v_accvgpr_read_b32 v40, a54
	v_accvgpr_read_b32 v38, a52
	ds_write2_b64 v32, v[10:11], v[14:15] offset0:2 offset1:3
	v_pk_add_f32 v[10:11], v[36:37], v[8:9]
	v_pk_add_f32 v[14:15], v[82:83], v[8:9]
	v_accvgpr_read_b32 v44, a58
	v_pk_add_f32 v[10:11], v[38:39], v[10:11]
	v_accvgpr_read_b32 v127, a59
	v_pk_add_f32 v[14:15], v[40:41], v[14:15]
	v_pk_add_f32 v[10:11], v[126:127], v[10:11]
	v_accvgpr_read_b32 v185, a71
	v_mov_b32_e32 v205, v181
	v_pk_add_f32 v[14:15], v[44:45], v[14:15]
	v_accvgpr_read_b32 v181, a69
	v_pk_add_f32 v[10:11], v[184:185], v[10:11]
	v_pk_add_f32 v[14:15], v[180:181], v[14:15]
	v_accvgpr_read_b32 v201, a75
	v_pk_add_f32 v[10:11], v[204:205], v[10:11]
	v_accvgpr_read_b32 v249, a79
	;; [unrolled: 2-line block ×3, first 2 shown]
	v_pk_add_f32 v[10:11], v[248:249], v[10:11]
	v_pk_add_f32 v[14:15], v[244:245], v[14:15]
	ds_write2_b64 v32, v[10:11], v[14:15] offset0:4 offset1:5
	v_accvgpr_read_b32 v10, a48
	v_accvgpr_read_b32 v11, a49
	v_mov_b32_e32 v0, v89
	v_mov_b32_e32 v1, v88
	v_pk_mul_f32 v[10:11], v[10:11], s[30:31] op_sel_hi:[1,0]
	v_pk_mul_f32 v[0:1], v[0:1], s[36:37] op_sel_hi:[1,0]
	v_pk_fma_f32 v[14:15], v[34:35], s[28:29], v[10:11] op_sel:[0,0,1] op_sel_hi:[1,0,0] neg_lo:[0,0,1] neg_hi:[0,0,1]
	v_pk_fma_f32 v[10:11], v[34:35], s[28:29], v[10:11] op_sel:[0,0,1] op_sel_hi:[1,0,0]
	v_mov_b32_e32 v2, v97
	v_mov_b32_e32 v3, v96
	;; [unrolled: 1-line block ×4, first 2 shown]
	v_pk_fma_f32 v[18:19], v[58:59], s[26:27], v[0:1] op_sel_hi:[1,0,1] neg_lo:[0,0,1] neg_hi:[0,0,1]
	v_pk_fma_f32 v[0:1], v[58:59], s[26:27], v[0:1] op_sel_hi:[1,0,1]
	v_pk_add_f32 v[16:17], v[16:17], v[8:9]
	v_mov_b32_e32 v20, v18
	v_mov_b32_e32 v21, v1
	v_pk_mul_f32 v[2:3], v[2:3], s[22:23] op_sel_hi:[1,0]
	v_mov_b32_e32 v4, v107
	v_mov_b32_e32 v5, v106
	v_pk_add_f32 v[16:17], v[20:21], v[16:17]
	v_pk_fma_f32 v[20:21], v[62:63], s[20:21], v[2:3] op_sel_hi:[1,0,1] neg_lo:[0,0,1] neg_hi:[0,0,1]
	v_pk_fma_f32 v[2:3], v[62:63], s[20:21], v[2:3] op_sel_hi:[1,0,1]
	v_mov_b32_e32 v22, v20
	v_mov_b32_e32 v23, v3
	v_pk_mul_f32 v[4:5], v[4:5], s[44:45] op_sel_hi:[1,0]
	v_mov_b32_e32 v6, v109
	v_mov_b32_e32 v7, v108
	v_pk_add_f32 v[16:17], v[22:23], v[16:17]
	v_pk_fma_f32 v[22:23], v[68:69], s[24:25], v[4:5] op_sel_hi:[1,0,1] neg_lo:[0,0,1] neg_hi:[0,0,1]
	v_pk_fma_f32 v[4:5], v[68:69], s[24:25], v[4:5] op_sel_hi:[1,0,1]
	v_mov_b32_e32 v11, v15
	v_mov_b32_e32 v24, v22
	;; [unrolled: 1-line block ×3, first 2 shown]
	v_pk_mul_f32 v[6:7], v[6:7], s[14:15] op_sel_hi:[1,0]
	v_pk_add_f32 v[8:9], v[10:11], v[8:9]
	v_mov_b32_e32 v1, v19
	v_mov_b32_e32 v12, v111
	;; [unrolled: 1-line block ×3, first 2 shown]
	v_pk_add_f32 v[16:17], v[24:25], v[16:17]
	v_pk_fma_f32 v[24:25], v[66:67], s[12:13], v[6:7] op_sel_hi:[1,0,1] neg_lo:[0,0,1] neg_hi:[0,0,1]
	v_pk_fma_f32 v[6:7], v[66:67], s[12:13], v[6:7] op_sel_hi:[1,0,1]
	v_pk_add_f32 v[0:1], v[0:1], v[8:9]
	v_mov_b32_e32 v3, v21
	v_mov_b32_e32 v26, v24
	;; [unrolled: 1-line block ×3, first 2 shown]
	v_pk_mul_f32 v[12:13], v[12:13], s[18:19] op_sel_hi:[1,0]
	v_pk_add_f32 v[0:1], v[2:3], v[0:1]
	v_mov_b32_e32 v5, v23
	v_pk_add_f32 v[16:17], v[26:27], v[16:17]
	v_pk_fma_f32 v[26:27], v[64:65], s[8:9], v[12:13] op_sel_hi:[1,0,1] neg_lo:[0,0,1] neg_hi:[0,0,1]
	v_pk_fma_f32 v[12:13], v[64:65], s[8:9], v[12:13] op_sel_hi:[1,0,1]
	v_pk_add_f32 v[0:1], v[4:5], v[0:1]
	v_mov_b32_e32 v7, v25
	v_mov_b32_e32 v28, v26
	v_mov_b32_e32 v29, v13
	v_pk_add_f32 v[0:1], v[6:7], v[0:1]
	v_mov_b32_e32 v13, v27
	v_pk_add_f32 v[16:17], v[28:29], v[16:17]
	v_pk_add_f32 v[0:1], v[12:13], v[0:1]
	ds_write2_b64 v32, v[16:17], v[0:1] offset0:6 offset1:7
	v_accvgpr_read_b32 v0, a38
	v_accvgpr_read_b32 v1, a39
	;; [unrolled: 1-line block ×4, first 2 shown]
	ds_write2_b64 v32, v[0:1], v[2:3] offset0:8 offset1:9
	v_accvgpr_read_b32 v0, a34
	v_accvgpr_read_b32 v1, a35
	;; [unrolled: 1-line block ×4, first 2 shown]
	ds_write2_b64 v32, v[0:1], v[2:3] offset0:10 offset1:11
	ds_write_b64 v32, a[32:33] offset:96
.LBB0_7:
	s_or_b64 exec, exec, s[34:35]
	v_accvgpr_read_b32 v63, a9
	s_mov_b64 s[8:9], 0xb6
	v_accvgpr_read_b32 v62, a8
	v_lshl_add_u64 v[102:103], v[62:63], 0, s[8:9]
	s_movk_i32 s8, 0x4f
	v_mul_lo_u16_sdwa v0, v62, s8 dst_sel:DWORD dst_unused:UNUSED_PAD src0_sel:BYTE_0 src1_sel:DWORD
	v_mul_lo_u16_sdwa v1, v178, s8 dst_sel:DWORD dst_unused:UNUSED_PAD src0_sel:BYTE_0 src1_sel:DWORD
	v_lshrrev_b16_e32 v2, 10, v0
	v_lshrrev_b16_e32 v4, 10, v1
	v_mul_lo_u16_e32 v0, 13, v2
	v_mul_lo_u16_e32 v1, 13, v4
	v_sub_u16_e32 v0, v62, v0
	v_sub_u16_e32 v1, v178, v1
	v_and_b32_e32 v3, 0xff, v0
	v_and_b32_e32 v5, 0xff, v1
	v_mul_u32_u24_e32 v0, 6, v3
	v_mul_u32_u24_e32 v1, 6, v5
	v_lshlrev_b32_e32 v0, 3, v0
	v_lshlrev_b32_e32 v1, 3, v1
	s_movk_i32 s8, 0x4ec5
	s_waitcnt lgkmcnt(0)
	s_barrier
	global_load_dwordx4 v[44:47], v0, s[0:1] offset:16
	global_load_dwordx4 v[16:19], v0, s[0:1]
	global_load_dwordx4 v[8:11], v1, s[0:1] offset:32
	global_load_dwordx4 v[56:59], v1, s[0:1] offset:16
	;; [unrolled: 1-line block ×3, first 2 shown]
	global_load_dwordx4 v[12:15], v1, s[0:1]
	v_mul_u32_u24_sdwa v0, v102, s8 dst_sel:DWORD dst_unused:UNUSED_PAD src0_sel:WORD_0 src1_sel:DWORD
	v_lshrrev_b32_e32 v6, 18, v0
	v_mul_lo_u16_e32 v0, 13, v6
	v_sub_u16_e32 v7, v102, v0
	v_mul_lo_u16_e32 v0, 6, v7
	v_lshlrev_b32_e32 v0, 3, v0
	global_load_dwordx4 v[40:43], v0, s[0:1] offset:16
	global_load_dwordx4 v[36:39], v0, s[0:1] offset:32
	global_load_dwordx4 v[80:83], v0, s[0:1]
	s_movk_i32 s8, 0x5b
	v_mul_u32_u24_e32 v2, 0x5b, v2
	v_add_u32_e32 v126, 0x1000, v136
	v_add_lshl_u32 v144, v2, v3, 3
	v_mad_legacy_u16 v3, v6, s8, v7
	v_add_u32_e32 v129, 0x1400, v136
	v_add_u32_e32 v130, 0x2000, v136
	;; [unrolled: 1-line block ×6, first 2 shown]
	ds_read_b64 v[0:1], v136 offset:14560
	v_add_u32_e32 v133, 0x400, v136
	ds_read2_b64 v[32:35], v126 offset0:34 offset1:125
	ds_read2_b64 v[28:31], v129 offset0:88 offset1:179
	;; [unrolled: 1-line block ×8, first 2 shown]
	v_lshlrev_b32_e32 v63, 3, v3
	s_waitcnt lgkmcnt(3)
	v_mov_b32_e32 v78, v99
	v_mov_b32_e32 v79, v28
	;; [unrolled: 1-line block ×3, first 2 shown]
	v_mul_u32_u24_e32 v4, 0x5b, v4
	v_add_lshl_u32 v103, v4, v5, 3
	s_mov_b32 s20, 0x3eae86e6
	s_mov_b32 s14, 0x3d64c772
	;; [unrolled: 1-line block ×12, first 2 shown]
	v_accvgpr_write_b32 a42, v144
	v_accvgpr_write_b32 a31, v103
	v_accvgpr_write_b32 a9, v63
	s_waitcnt vmcnt(6) lgkmcnt(2)
	v_mul_f32_e32 v60, v105, v9
	s_waitcnt vmcnt(5)
	v_mul_f32_e32 v101, v51, v58
	v_mul_f32_e32 v3, v33, v19
	v_fma_f32 v90, v32, v18, -v3
	v_mov_b32_e32 v3, v29
	s_waitcnt vmcnt(4)
	v_mul_f32_e32 v4, v27, v21
	s_waitcnt vmcnt(3)
	v_mul_f32_e32 v6, v35, v15
	v_fma_f32 v88, v26, v20, -v4
	s_waitcnt vmcnt(2)
	v_mov_b32_e32 v87, v40
	v_mov_b32_e32 v76, v87
	s_waitcnt vmcnt(0)
	v_mul_f32_e32 v40, v29, v83
	v_mov_b32_e32 v29, v83
	v_fma_f32 v73, v28, v82, -v40
	v_mov_b32_e32 v28, v41
	v_accvgpr_write_b32 a61, v29
	v_mov_b32_e32 v77, v82
	v_accvgpr_write_b32 a60, v28
	v_pk_mul_f32 v[28:29], v[78:79], v[28:29]
	v_mov_b32_e32 v40, v81
	v_pk_fma_f32 v[78:79], v[98:99], v[76:77], v[28:29] neg_lo:[0,0,1] neg_hi:[0,0,1]
	v_pk_fma_f32 v[2:3], v[2:3], v[76:77], v[28:29]
	s_waitcnt lgkmcnt(1)
	v_mov_b32_e32 v76, v111
	v_mov_b32_e32 v77, v98
	v_mul_f32_e32 v68, v110, v81
	v_mov_b32_e32 v28, v110
	v_mov_b32_e32 v29, v99
	;; [unrolled: 1-line block ×3, first 2 shown]
	v_accvgpr_write_b32 a48, v80
	v_pk_mul_f32 v[76:77], v[76:77], v[40:41]
	v_mov_b32_e32 v84, v43
	v_mov_b32_e32 v85, v36
	v_mul_f32_e32 v61, v107, v37
	v_fmac_f32_e32 v68, v111, v80
	v_accvgpr_write_b32 a49, v81
	v_accvgpr_write_b32 a50, v82
	;; [unrolled: 1-line block ×3, first 2 shown]
	v_pk_fma_f32 v[80:81], v[28:29], v[86:87], v[76:77] neg_lo:[0,0,1] neg_hi:[0,0,1]
	v_pk_fma_f32 v[76:77], v[28:29], v[86:87], v[76:77]
	v_mov_b32_e32 v28, v25
	v_mov_b32_e32 v29, v107
	v_mul_f32_e32 v70, v0, v39
	v_fma_f32 v4, v34, v14, -v6
	v_fma_f32 v6, v104, v8, -v60
	;; [unrolled: 1-line block ×3, first 2 shown]
	v_accvgpr_write_b32 a52, v84
	v_pk_mul_f32 v[28:29], v[28:29], v[84:85]
	v_mov_b32_e32 v82, v24
	v_mov_b32_e32 v83, v106
	;; [unrolled: 1-line block ×4, first 2 shown]
	v_fmac_f32_e32 v70, v1, v38
	v_accvgpr_write_b32 a58, v86
	v_accvgpr_write_b32 a53, v85
	v_pk_fma_f32 v[84:85], v[24:25], v[42:43], v[28:29] neg_lo:[0,0,1] neg_hi:[0,0,1]
	v_pk_fma_f32 v[28:29], v[82:83], v[60:61], v[28:29]
	v_mov_b32_e32 v82, v0
	v_mov_b32_e32 v83, v24
	;; [unrolled: 1-line block ×5, first 2 shown]
	v_accvgpr_write_b32 a59, v87
	v_mov_b32_e32 v86, v38
	v_mov_b32_e32 v87, v43
	v_pk_mul_f32 v[0:1], v[24:25], v[0:1]
	v_mov_b32_e32 v79, v3
	v_pk_fma_f32 v[98:99], v[82:83], v[86:87], v[0:1] neg_lo:[0,0,1] neg_hi:[0,0,1]
	v_pk_fma_f32 v[0:1], v[82:83], v[86:87], v[0:1]
	v_mov_b32_e32 v81, v77
	v_mov_b32_e32 v85, v29
	;; [unrolled: 1-line block ×11, first 2 shown]
	v_add_f32_e32 v67, v68, v70
	v_add_f32_e32 v64, v73, v75
	v_pk_add_f32 v[24:25], v[68:69], v[70:71] neg_lo:[0,1] neg_hi:[0,1]
	v_pk_add_f32 v[28:29], v[72:73], v[74:75] neg_lo:[0,1] neg_hi:[0,1]
	v_pk_add_f32 v[70:71], v[78:79], v[84:85]
	v_pk_add_f32 v[68:69], v[80:81], v[98:99]
	v_pk_add_f32 v[0:1], v[0:1], v[2:3] neg_lo:[0,1] neg_hi:[0,1]
	v_add_f32_e32 v2, v64, v68
	v_add_f32_e32 v73, v71, v67
	v_mov_b32_e32 v66, v70
	v_mov_b32_e32 v65, v69
	;; [unrolled: 1-line block ×8, first 2 shown]
	v_pk_add_f32 v[74:75], v[66:67], v[64:65] neg_lo:[0,1] neg_hi:[0,1]
	v_pk_add_f32 v[76:77], v[0:1], v[28:29]
	v_pk_add_f32 v[82:83], v[80:81], v[82:83] neg_lo:[0,1] neg_hi:[0,1]
	v_mov_b32_e32 v80, v24
	v_mov_b32_e32 v81, v1
	;; [unrolled: 1-line block ×3, first 2 shown]
	v_pk_add_f32 v[2:3], v[2:3], v[72:73]
	v_pk_add_f32 v[78:79], v[68:69], v[70:71] neg_lo:[0,1] neg_hi:[0,1]
	v_pk_add_f32 v[0:1], v[80:81], v[0:1] neg_lo:[0,1] neg_hi:[0,1]
	s_waitcnt lgkmcnt(0)
	v_pk_add_f32 v[86:87], v[52:53], v[2:3]
	v_pk_mul_f32 v[52:53], v[74:75], s[14:15]
	v_pk_mul_f32 v[84:85], v[82:83], s[22:23]
	v_pk_add_f32 v[72:73], v[76:77], v[24:25]
	v_pk_mul_f32 v[80:81], v[0:1], s[20:21]
	v_pk_fma_f32 v[82:83], v[2:3], s[12:13], v[86:87] op_sel_hi:[1,0,1] neg_lo:[1,0,0] neg_hi:[1,0,0]
	v_pk_fma_f32 v[2:3], v[78:79], s[18:19], v[52:53]
	v_pk_fma_f32 v[0:1], v[0:1], s[20:21], v[84:85]
	v_add_u32_e32 v43, 0x3000, v136
	v_pk_add_f32 v[2:3], v[2:3], v[82:83]
	v_pk_fma_f32 v[0:1], v[72:73], s[8:9], v[0:1] op_sel_hi:[1,0,1]
	ds_read2_b64 v[114:117], v43 offset0:102 offset1:193
	v_mul_f32_e32 v119, v50, v59
	v_pk_mul_f32 v[76:77], v[78:79], s[18:19]
	v_pk_add_f32 v[74:75], v[2:3], v[0:1] neg_lo:[0,1] neg_hi:[0,1]
	v_pk_add_f32 v[78:79], v[2:3], v[0:1]
	v_pk_mul_f32 v[2:3], v[108:109], v[12:13] op_sel_hi:[1,0]
	v_mov_b32_e32 v106, v35
	v_mov_b32_e32 v107, v50
	v_mov_b32_e32 v35, v51
	v_mov_b32_e32 v50, v15
	v_mov_b32_e32 v51, v59
	v_pk_fma_f32 v[98:99], v[108:109], v[12:13], v[2:3] op_sel:[0,1,1] op_sel_hi:[1,1,0]
	v_pk_fma_f32 v[2:3], v[108:109], v[12:13], v[2:3] op_sel:[0,1,1] op_sel_hi:[1,1,0] neg_lo:[1,0,0] neg_hi:[1,0,0]
	v_mov_b32_e32 v108, v14
	v_mov_b32_e32 v109, v58
	v_pk_mul_f32 v[34:35], v[34:35], v[50:51]
	v_mul_f32_e32 v5, v97, v56
	v_mul_f32_e32 v7, v96, v57
	v_pk_fma_f32 v[50:51], v[106:107], v[14:15], v[34:35]
	v_pk_fma_f32 v[34:35], v[106:107], v[108:109], v[34:35] neg_lo:[0,0,1] neg_hi:[0,0,1]
	v_mov_b32_e32 v106, v105
	v_mov_b32_e32 v107, v96
	;; [unrolled: 1-line block ×7, first 2 shown]
	v_pk_mul_f32 v[96:97], v[104:105], v[96:97]
	v_mov_b32_e32 v2, v11
	v_pk_fma_f32 v[104:105], v[106:107], v[8:9], v[96:97]
	v_pk_fma_f32 v[96:97], v[106:107], v[108:109], v[96:97] neg_lo:[0,0,1] neg_hi:[0,0,1]
	s_waitcnt lgkmcnt(0)
	v_pk_mul_f32 v[106:107], v[116:117], v[10:11] op_sel_hi:[1,0]
	v_mov_b32_e32 v99, v3
	v_pk_fma_f32 v[108:109], v[116:117], v[2:3], v[106:107] op_sel:[0,0,1] op_sel_hi:[1,0,0]
	v_pk_fma_f32 v[106:107], v[116:117], v[2:3], v[106:107] op_sel:[0,0,1] op_sel_hi:[1,0,0] neg_lo:[1,0,0] neg_hi:[1,0,0]
	v_mov_b32_e32 v51, v35
	v_mov_b32_e32 v105, v97
	;; [unrolled: 1-line block ×5, first 2 shown]
	ds_read2_b64 v[110:113], v136 offset1:91
	v_pk_add_f32 v[0:1], v[4:5], v[6:7]
	v_pk_add_f32 v[116:117], v[98:99], v[108:109]
	v_pk_add_f32 v[98:99], v[98:99], v[108:109] neg_lo:[0,1] neg_hi:[0,1]
	v_pk_add_f32 v[108:109], v[50:51], v[104:105]
	v_pk_add_f32 v[2:3], v[100:101], v[118:119]
	v_pk_mul_f32 v[124:125], v[54:55], v[16:17] op_sel_hi:[1,0]
	v_mul_f32_e32 v93, v49, v46
	v_mul_f32_e32 v95, v48, v47
	v_mov_b32_e32 v100, v3
	v_mov_b32_e32 v101, v4
	;; [unrolled: 1-line block ×8, first 2 shown]
	v_pk_fma_f32 v[134:135], v[54:55], v[16:17], v[124:125] op_sel:[0,1,1] op_sel_hi:[1,1,0]
	v_pk_fma_f32 v[54:55], v[54:55], v[16:17], v[124:125] op_sel:[0,1,1] op_sel_hi:[1,1,0] neg_lo:[1,0,0] neg_hi:[1,0,0]
	v_mov_b32_e32 v124, v33
	v_mov_b32_e32 v125, v48
	;; [unrolled: 1-line block ×5, first 2 shown]
	v_pk_add_f32 v[4:5], v[100:101], v[4:5] neg_lo:[0,1] neg_hi:[0,1]
	v_pk_add_f32 v[118:119], v[0:1], v[2:3]
	v_pk_add_f32 v[34:35], v[96:97], v[34:35]
	v_mov_b32_e32 v138, v18
	v_mov_b32_e32 v139, v46
	v_pk_mul_f32 v[32:33], v[32:33], v[48:49]
	v_mul_f32_e32 v91, v31, v44
	v_mul_f32_e32 v89, v30, v45
	v_pk_add_f32 v[50:51], v[50:51], v[104:105] neg_lo:[0,1] neg_hi:[0,1]
	v_mov_b32_e32 v104, v4
	v_mov_b32_e32 v105, v99
	;; [unrolled: 1-line block ×5, first 2 shown]
	v_pk_fma_f32 v[48:49], v[124:125], v[18:19], v[32:33]
	v_pk_fma_f32 v[32:33], v[124:125], v[138:139], v[32:33] neg_lo:[0,0,1] neg_hi:[0,0,1]
	v_mov_b32_e32 v124, v27
	v_mov_b32_e32 v125, v30
	;; [unrolled: 1-line block ×7, first 2 shown]
	v_pk_add_f32 v[104:105], v[104:105], v[50:51] neg_lo:[0,1] neg_hi:[0,1]
	v_pk_add_f32 v[96:97], v[96:97], v[0:1] neg_lo:[0,1] neg_hi:[0,1]
	v_mov_b32_e32 v3, v119
	v_mov_b32_e32 v120, v34
	;; [unrolled: 1-line block ×3, first 2 shown]
	v_pk_add_f32 v[34:35], v[118:119], v[34:35]
	v_mov_b32_e32 v138, v20
	v_mov_b32_e32 v139, v44
	v_pk_mul_f32 v[26:27], v[26:27], v[30:31]
	v_pk_add_f32 v[6:7], v[6:7], v[4:5] neg_lo:[0,1] neg_hi:[0,1]
	v_pk_mul_f32 v[104:105], v[104:105], s[22:23]
	v_pk_add_f32 v[106:107], v[50:51], v[4:5]
	v_pk_add_f32 v[120:121], v[2:3], v[120:121] neg_lo:[0,1] neg_hi:[0,1]
	s_waitcnt lgkmcnt(0)
	v_pk_add_f32 v[112:113], v[112:113], v[34:35]
	v_pk_mul_f32 v[96:97], v[96:97], s[14:15]
	v_pk_fma_f32 v[30:31], v[124:125], v[20:21], v[26:27]
	v_pk_fma_f32 v[26:27], v[124:125], v[138:139], v[26:27] neg_lo:[0,0,1] neg_hi:[0,0,1]
	v_pk_mul_f32 v[124:125], v[114:115], v[22:23] op_sel_hi:[1,0]
	v_mov_b32_e32 v4, v23
	v_pk_mul_f32 v[100:101], v[6:7], s[20:21]
	v_pk_add_f32 v[106:107], v[106:107], v[98:99]
	v_pk_mul_f32 v[118:119], v[120:121], s[18:19]
	v_pk_fma_f32 v[34:35], v[34:35], s[12:13], v[112:113] op_sel_hi:[1,0,1] neg_lo:[1,0,0] neg_hi:[1,0,0]
	v_pk_fma_f32 v[120:121], v[120:121], s[18:19], v[96:97]
	v_pk_fma_f32 v[6:7], v[6:7], s[20:21], v[104:105]
	v_pk_fma_f32 v[138:139], v[114:115], v[4:5], v[124:125] op_sel:[0,0,1] op_sel_hi:[1,0,0]
	v_pk_fma_f32 v[114:115], v[114:115], v[4:5], v[124:125] op_sel:[0,0,1] op_sel_hi:[1,0,0] neg_lo:[1,0,0] neg_hi:[1,0,0]
	v_pk_add_f32 v[120:121], v[120:121], v[34:35]
	v_pk_fma_f32 v[6:7], v[106:107], s[8:9], v[6:7] op_sel_hi:[1,0,1]
	v_mov_b32_e32 v135, v55
	v_mov_b32_e32 v49, v33
	;; [unrolled: 1-line block ×6, first 2 shown]
	v_pk_add_f32 v[122:123], v[120:121], v[6:7]
	v_pk_add_f32 v[6:7], v[120:121], v[6:7] neg_lo:[0,1] neg_hi:[0,1]
	v_pk_add_f32 v[120:121], v[90:91], v[88:89]
	v_pk_add_f32 v[124:125], v[134:135], v[138:139]
	v_pk_add_f32 v[134:135], v[134:135], v[138:139] neg_lo:[0,1] neg_hi:[0,1]
	v_pk_add_f32 v[138:139], v[48:49], v[30:31]
	v_pk_add_f32 v[30:31], v[48:49], v[30:31] neg_lo:[0,1] neg_hi:[0,1]
	v_pk_add_f32 v[48:49], v[92:93], v[94:95]
	v_mov_b32_e32 v55, v90
	v_mov_b32_e32 v54, v49
	;; [unrolled: 1-line block ×8, first 2 shown]
	v_pk_add_f32 v[54:55], v[54:55], v[90:91] neg_lo:[0,1] neg_hi:[0,1]
	v_pk_add_f32 v[114:115], v[120:121], v[48:49]
	v_pk_add_f32 v[26:27], v[26:27], v[32:33]
	v_mov_b32_e32 v92, v54
	v_mov_b32_e32 v93, v135
	;; [unrolled: 1-line block ×6, first 2 shown]
	v_pk_add_f32 v[92:93], v[92:93], v[30:31] neg_lo:[0,1] neg_hi:[0,1]
	v_pk_add_f32 v[32:33], v[32:33], v[120:121] neg_lo:[0,1] neg_hi:[0,1]
	v_mov_b32_e32 v49, v115
	v_mov_b32_e32 v140, v26
	;; [unrolled: 1-line block ×3, first 2 shown]
	v_pk_add_f32 v[26:27], v[114:115], v[26:27]
	v_pk_add_f32 v[88:89], v[88:89], v[54:55] neg_lo:[0,1] neg_hi:[0,1]
	v_pk_mul_f32 v[92:93], v[92:93], s[22:23]
	v_pk_add_f32 v[94:95], v[30:31], v[54:55]
	v_pk_add_f32 v[140:141], v[48:49], v[140:141] neg_lo:[0,1] neg_hi:[0,1]
	v_pk_add_f32 v[110:111], v[110:111], v[26:27]
	v_pk_mul_f32 v[32:33], v[32:33], s[14:15]
	v_pk_mul_f32 v[90:91], v[88:89], s[20:21]
	v_pk_add_f32 v[94:95], v[94:95], v[134:135]
	v_pk_mul_f32 v[114:115], v[140:141], s[18:19]
	v_pk_fma_f32 v[26:27], v[26:27], s[12:13], v[110:111] op_sel_hi:[1,0,1] neg_lo:[1,0,0] neg_hi:[1,0,0]
	v_pk_fma_f32 v[140:141], v[140:141], s[18:19], v[32:33]
	v_pk_fma_f32 v[88:89], v[88:89], s[20:21], v[92:93]
	v_pk_add_f32 v[140:141], v[140:141], v[26:27]
	v_pk_fma_f32 v[88:89], v[94:95], s[8:9], v[88:89] op_sel_hi:[1,0,1]
	v_mov_b32_e32 v31, v55
	v_pk_add_f32 v[142:143], v[140:141], v[88:89]
	v_pk_add_f32 v[88:89], v[140:141], v[88:89] neg_lo:[0,1] neg_hi:[0,1]
	v_mov_b32_e32 v140, v142
	v_mov_b32_e32 v141, v89
	;; [unrolled: 1-line block ×4, first 2 shown]
	s_barrier
	ds_write2_b64 v144, v[110:111], v[140:141] offset1:13
	v_pk_add_f32 v[30:31], v[30:31], v[134:135] neg_lo:[0,1] neg_hi:[0,1]
	v_pk_add_f32 v[48:49], v[120:121], v[48:49] neg_lo:[0,1] neg_hi:[0,1]
	v_mov_b32_e32 v54, v114
	v_mov_b32_e32 v55, v33
	;; [unrolled: 1-line block ×6, first 2 shown]
	v_pk_fma_f32 v[54:55], v[48:49], s[26:27], v[54:55] op_sel_hi:[1,0,1] neg_lo:[1,0,1] neg_hi:[1,0,1]
	v_pk_fma_f32 v[110:111], v[30:31], s[24:25], v[110:111] op_sel_hi:[1,0,1] neg_lo:[1,0,1] neg_hi:[1,0,1]
	;; [unrolled: 1-line block ×4, first 2 shown]
	v_pk_add_f32 v[54:55], v[54:55], v[26:27]
	v_pk_fma_f32 v[110:111], v[94:95], s[8:9], v[110:111] op_sel_hi:[1,0,1]
	v_pk_add_f32 v[26:27], v[32:33], v[26:27]
	v_pk_fma_f32 v[30:31], v[94:95], s[8:9], v[30:31] op_sel_hi:[1,0,1]
	v_pk_add_f32 v[120:121], v[54:55], v[110:111]
	v_pk_add_f32 v[54:55], v[54:55], v[110:111] neg_lo:[0,1] neg_hi:[0,1]
	v_pk_add_f32 v[32:33], v[26:27], v[30:31] neg_lo:[0,1] neg_hi:[0,1]
	v_pk_add_f32 v[26:27], v[26:27], v[30:31]
	v_mov_b32_e32 v111, v55
	v_mov_b32_e32 v31, v27
	;; [unrolled: 1-line block ×6, first 2 shown]
	ds_write2_b64 v144, v[26:27], v[54:55] offset0:52 offset1:65
	v_mov_b32_e32 v89, v143
	v_mov_b32_e32 v26, v122
	;; [unrolled: 1-line block ×6, first 2 shown]
	ds_write2_b64 v144, v[110:111], v[30:31] offset0:26 offset1:39
	ds_write_b64 v144, v[88:89] offset:624
	ds_write2_b64 v103, v[112:113], v[26:27] offset1:13
	v_pk_add_f32 v[4:5], v[50:51], v[98:99] neg_lo:[0,1] neg_hi:[0,1]
	v_pk_add_f32 v[0:1], v[0:1], v[2:3] neg_lo:[0,1] neg_hi:[0,1]
	v_mov_b32_e32 v2, v118
	v_mov_b32_e32 v3, v97
	;; [unrolled: 1-line block ×6, first 2 shown]
	v_pk_fma_f32 v[2:3], v[0:1], s[26:27], v[2:3] op_sel_hi:[1,0,1] neg_lo:[1,0,1] neg_hi:[1,0,1]
	v_pk_fma_f32 v[26:27], v[4:5], s[24:25], v[26:27] op_sel_hi:[1,0,1] neg_lo:[1,0,1] neg_hi:[1,0,1]
	;; [unrolled: 1-line block ×4, first 2 shown]
	v_pk_add_f32 v[2:3], v[2:3], v[34:35]
	v_pk_fma_f32 v[26:27], v[106:107], s[8:9], v[26:27] op_sel_hi:[1,0,1]
	v_pk_add_f32 v[0:1], v[0:1], v[34:35]
	v_pk_fma_f32 v[4:5], v[106:107], s[8:9], v[4:5] op_sel_hi:[1,0,1]
	v_pk_add_f32 v[30:31], v[2:3], v[26:27]
	v_pk_add_f32 v[2:3], v[2:3], v[26:27] neg_lo:[0,1] neg_hi:[0,1]
	v_pk_add_f32 v[32:33], v[0:1], v[4:5] neg_lo:[0,1] neg_hi:[0,1]
	v_pk_add_f32 v[0:1], v[0:1], v[4:5]
	v_mov_b32_e32 v27, v3
	v_mov_b32_e32 v5, v1
	;; [unrolled: 1-line block ×6, first 2 shown]
	ds_write2_b64 v103, v[0:1], v[2:3] offset0:52 offset1:65
	v_mov_b32_e32 v7, v123
	v_mov_b32_e32 v0, v78
	;; [unrolled: 1-line block ×5, first 2 shown]
	ds_write2_b64 v103, v[26:27], v[4:5] offset0:26 offset1:39
	ds_write_b64 v103, v[6:7] offset:624
	ds_write2_b64 v63, v[86:87], v[0:1] offset1:13
	v_pk_add_f32 v[0:1], v[64:65], v[68:69] neg_lo:[0,1] neg_hi:[0,1]
	v_pk_add_f32 v[2:3], v[28:29], v[24:25] neg_lo:[0,1] neg_hi:[0,1]
	v_mov_b32_e32 v4, v76
	v_mov_b32_e32 v5, v53
	;; [unrolled: 1-line block ×6, first 2 shown]
	v_pk_fma_f32 v[4:5], v[0:1], s[26:27], v[4:5] op_sel_hi:[1,0,1] neg_lo:[1,0,1] neg_hi:[1,0,1]
	v_pk_fma_f32 v[6:7], v[2:3], s[24:25], v[6:7] op_sel_hi:[1,0,1] neg_lo:[1,0,1] neg_hi:[1,0,1]
	;; [unrolled: 1-line block ×4, first 2 shown]
	v_pk_add_f32 v[4:5], v[4:5], v[82:83]
	v_pk_fma_f32 v[6:7], v[72:73], s[8:9], v[6:7] op_sel_hi:[1,0,1]
	v_pk_add_f32 v[0:1], v[0:1], v[82:83]
	v_pk_fma_f32 v[2:3], v[72:73], s[8:9], v[2:3] op_sel_hi:[1,0,1]
	v_pk_add_f32 v[24:25], v[4:5], v[6:7] neg_lo:[0,1] neg_hi:[0,1]
	v_pk_add_f32 v[4:5], v[4:5], v[6:7]
	v_pk_add_f32 v[26:27], v[0:1], v[2:3]
	v_pk_add_f32 v[0:1], v[0:1], v[2:3] neg_lo:[0,1] neg_hi:[0,1]
	s_movk_i32 s9, 0x6817
	v_mov_b32_e32 v6, v4
	v_mov_b32_e32 v7, v25
	;; [unrolled: 1-line block ×7, first 2 shown]
	v_mad_u64_u32 v[104:105], s[28:29], v62, 48, s[0:1]
	v_mul_u32_u24_sdwa v0, v102, s9 dst_sel:DWORD dst_unused:UNUSED_PAD src0_sel:WORD_0 src1_sel:DWORD
	ds_write2_b64 v63, v[6:7], v[2:3] offset0:26 offset1:39
	ds_write2_b64 v63, v[26:27], v[24:25] offset0:52 offset1:65
	ds_write_b64 v63, v[74:75] offset:624
	s_waitcnt lgkmcnt(0)
	s_barrier
	global_load_dwordx4 v[24:27], v[104:105], off offset:640
	global_load_dwordx4 v[32:35], v[104:105], off offset:624
	v_sub_u16_sdwa v1, v102, v0 dst_sel:DWORD dst_unused:UNUSED_PAD src0_sel:DWORD src1_sel:WORD_1
	v_lshrrev_b16_e32 v1, 1, v1
	v_add_u16_sdwa v0, v1, v0 dst_sel:DWORD dst_unused:UNUSED_PAD src0_sel:DWORD src1_sel:WORD_1
	v_lshrrev_b16_e32 v0, 6, v0
	v_accvgpr_write_b32 a63, v61
	global_load_dwordx4 v[28:31], v[104:105], off offset:656
	v_mul_lo_u16_e32 v0, 0x5b, v0
	v_accvgpr_write_b32 a62, v60
	v_lshlrev_b32_e32 v106, 3, v62
	v_mov_b32_e32 v107, 0
	v_sub_u16_e32 v60, v102, v0
	v_lshl_add_u64 v[112:113], s[16:17], 0, v[106:107]
	v_mul_lo_u16_e32 v106, 48, v60
	v_lshl_add_u64 v[0:1], s[0:1], 0, v[106:107]
	global_load_dwordx4 v[52:55], v[0:1], off offset:640
	global_load_dwordx4 v[48:51], v[0:1], off offset:656
	;; [unrolled: 1-line block ×3, first 2 shown]
	ds_read2_b64 v[96:99], v133 offset0:54 offset1:145
	ds_read2_b64 v[92:95], v126 offset0:34 offset1:125
	;; [unrolled: 1-line block ×9, first 2 shown]
	ds_read_b64 v[0:1], v136 offset:14560
	s_waitcnt lgkmcnt(9)
	v_mov_b32_e32 v156, v98
	s_waitcnt lgkmcnt(7)
	v_mov_b32_e32 v157, v143
	v_mov_b32_e32 v164, v143
	;; [unrolled: 1-line block ×3, first 2 shown]
	s_waitcnt lgkmcnt(6)
	v_mov_b32_e32 v170, v69
	s_waitcnt lgkmcnt(5)
	v_mov_b32_e32 v171, v196
	ds_read2_b64 v[72:75], v136 offset1:91
	s_movk_i32 s9, 0x1000
	s_waitcnt lgkmcnt(0)
	s_barrier
	v_lshlrev_b32_e32 v60, 3, v60
	v_lshlrev_b32_e32 v106, 4, v178
	v_lshlrev_b32_e32 v101, 4, v62
	v_accvgpr_write_b32 a43, v60
	v_accvgpr_write_b32 a96, v39
	s_waitcnt vmcnt(5)
	v_mov_b32_e32 v159, v25
	s_waitcnt vmcnt(4)
	v_mul_f32_e32 v2, v98, v33
	v_fmac_f32_e32 v2, v99, v32
	v_mov_b32_e32 v98, v99
	v_mov_b32_e32 v99, v142
	;; [unrolled: 1-line block ×4, first 2 shown]
	v_mul_f32_e32 v3, v93, v35
	v_mov_b32_e32 v146, v32
	v_pk_mul_f32 v[98:99], v[98:99], v[158:159]
	v_fma_f32 v5, v92, v34, -v3
	v_pk_fma_f32 v[160:161], v[156:157], v[146:147], v[98:99] neg_lo:[0,0,1] neg_hi:[0,0,1]
	v_pk_fma_f32 v[98:99], v[156:157], v[146:147], v[98:99]
	v_mov_b32_e32 v157, v93
	v_mov_b32_e32 v92, v25
	;; [unrolled: 1-line block ×3, first 2 shown]
	s_waitcnt vmcnt(3)
	v_mul_f32_e32 v3, v197, v29
	v_mov_b32_e32 v156, v142
	v_mov_b32_e32 v162, v24
	;; [unrolled: 1-line block ×3, first 2 shown]
	v_pk_mul_f32 v[164:165], v[164:165], v[92:93]
	v_fma_f32 v7, v196, v28, -v3
	v_pk_fma_f32 v[142:143], v[142:143], v[24:25], v[164:165] neg_lo:[0,0,1] neg_hi:[0,0,1]
	v_pk_fma_f32 v[156:157], v[156:157], v[162:163], v[164:165]
	v_mov_b32_e32 v165, v197
	v_mov_b32_e32 v196, v27
	;; [unrolled: 1-line block ×3, first 2 shown]
	v_mul_f32_e32 v134, v76, v31
	v_mul_f32_e32 v3, v95, v35
	v_mov_b32_e32 v164, v68
	v_mov_b32_e32 v166, v26
	;; [unrolled: 1-line block ×3, first 2 shown]
	v_pk_mul_f32 v[170:171], v[170:171], v[196:197]
	v_fmac_f32_e32 v134, v77, v30
	v_fma_f32 v119, v94, v34, -v3
	v_mul_f32_e32 v3, v81, v29
	v_pk_fma_f32 v[188:189], v[68:69], v[26:27], v[170:171] neg_lo:[0,0,1] neg_hi:[0,0,1]
	v_pk_fma_f32 v[164:165], v[164:165], v[166:167], v[170:171]
	v_mov_b32_e32 v170, v76
	v_mov_b32_e32 v171, v69
	;; [unrolled: 1-line block ×6, first 2 shown]
	v_fma_f32 v121, v80, v28, -v3
	s_waitcnt vmcnt(0)
	v_mul_f32_e32 v3, v141, v67
	v_mov_b32_e32 v168, v30
	v_mov_b32_e32 v169, v26
	v_pk_mul_f32 v[76:77], v[76:77], v[68:69]
	v_fma_f32 v145, v140, v66, -v3
	v_mul_f32_e32 v3, v83, v49
	v_pk_fma_f32 v[190:191], v[170:171], v[168:169], v[76:77] neg_lo:[0,0,1] neg_hi:[0,0,1]
	v_pk_fma_f32 v[76:77], v[170:171], v[168:169], v[76:77]
	v_fma_f32 v149, v82, v48, -v3
	v_mov_b32_e32 v161, v99
	v_mov_b32_e32 v191, v77
	;; [unrolled: 1-line block ×10, first 2 shown]
	v_add_f32_e32 v153, v2, v134
	v_add_f32_e32 v154, v5, v7
	v_mov_b32_e32 v143, v157
	v_mov_b32_e32 v189, v165
	v_pk_add_f32 v[2:3], v[2:3], v[134:135] neg_lo:[0,1] neg_hi:[0,1]
	v_pk_add_f32 v[4:5], v[4:5], v[6:7] neg_lo:[0,1] neg_hi:[0,1]
	;; [unrolled: 1-line block ×3, first 2 shown]
	v_pk_add_f32 v[6:7], v[142:143], v[188:189]
	v_pk_add_f32 v[134:135], v[160:161], v[190:191]
	v_mov_b32_e32 v170, v76
	v_mov_b32_e32 v171, v3
	;; [unrolled: 1-line block ×6, first 2 shown]
	v_pk_add_f32 v[164:165], v[76:77], v[4:5]
	v_pk_add_f32 v[170:171], v[170:171], v[188:189] neg_lo:[0,1] neg_hi:[0,1]
	v_mov_b32_e32 v188, v2
	v_mov_b32_e32 v77, v5
	v_add_f32_e32 v98, v154, v134
	v_add_f32_e32 v143, v7, v153
	v_pk_add_f32 v[156:157], v[152:153], v[154:155] neg_lo:[0,1] neg_hi:[0,1]
	v_pk_add_f32 v[160:161], v[134:135], v[6:7] neg_lo:[0,1] neg_hi:[0,1]
	v_pk_add_f32 v[76:77], v[188:189], v[76:77] neg_lo:[0,1] neg_hi:[0,1]
	v_mov_b32_e32 v99, v135
	v_mov_b32_e32 v142, v6
	v_pk_add_f32 v[98:99], v[98:99], v[142:143]
	v_pk_add_f32 v[142:143], v[164:165], v[2:3]
	v_pk_mul_f32 v[156:157], v[156:157], s[14:15]
	v_pk_mul_f32 v[164:165], v[160:161], s[18:19]
	;; [unrolled: 1-line block ×4, first 2 shown]
	v_mov_b32_e32 v155, v7
	v_mov_b32_e32 v135, v153
	v_pk_add_f32 v[72:73], v[72:73], v[98:99]
	v_pk_fma_f32 v[160:161], v[160:161], s[18:19], v[156:157]
	v_pk_fma_f32 v[76:77], v[76:77], s[20:21], v[170:171]
	v_pk_add_f32 v[6:7], v[154:155], v[134:135] neg_lo:[0,1] neg_hi:[0,1]
	v_pk_add_f32 v[2:3], v[4:5], v[2:3] neg_lo:[0,1] neg_hi:[0,1]
	v_mov_b32_e32 v4, v164
	v_mov_b32_e32 v5, v157
	;; [unrolled: 1-line block ×6, first 2 shown]
	v_pk_fma_f32 v[98:99], v[98:99], s[12:13], v[72:73] op_sel_hi:[1,0,1] neg_lo:[1,0,0] neg_hi:[1,0,0]
	v_pk_fma_f32 v[4:5], v[6:7], s[26:27], v[4:5] op_sel_hi:[1,0,1] neg_lo:[1,0,1] neg_hi:[1,0,1]
	;; [unrolled: 1-line block ×5, first 2 shown]
	v_pk_fma_f32 v[76:77], v[142:143], s[8:9], v[76:77] op_sel_hi:[1,0,1]
	v_pk_fma_f32 v[134:135], v[142:143], s[8:9], v[134:135] op_sel_hi:[1,0,1]
	v_pk_add_f32 v[6:7], v[6:7], v[98:99]
	v_pk_fma_f32 v[2:3], v[142:143], s[8:9], v[2:3] op_sel_hi:[1,0,1]
	v_mov_b32_e32 v143, v140
	v_mov_b32_e32 v140, v53
	v_pk_add_f32 v[160:161], v[160:161], v[98:99]
	v_pk_add_f32 v[4:5], v[4:5], v[98:99]
	v_pk_add_f32 v[98:99], v[6:7], v[2:3] neg_lo:[0,1] neg_hi:[0,1]
	v_pk_add_f32 v[2:3], v[6:7], v[2:3]
	v_mov_b32_e32 v7, v141
	v_mov_b32_e32 v142, v91
	;; [unrolled: 1-line block ×3, first 2 shown]
	v_accvgpr_write_b32 a66, v140
	v_mul_f32_e32 v138, v86, v65
	v_pk_add_f32 v[152:153], v[4:5], v[134:135]
	v_pk_add_f32 v[4:5], v[4:5], v[134:135] neg_lo:[0,1] neg_hi:[0,1]
	v_mov_b32_e32 v6, v90
	v_mov_b32_e32 v134, v52
	;; [unrolled: 1-line block ×3, first 2 shown]
	v_accvgpr_write_b32 a67, v141
	v_pk_mul_f32 v[140:141], v[142:143], v[140:141]
	v_mov_b32_e32 v175, v52
	v_fmac_f32_e32 v138, v87, v64
	v_pk_fma_f32 v[142:143], v[90:91], v[134:135], v[140:141] neg_lo:[0,0,1] neg_hi:[0,0,1]
	v_pk_fma_f32 v[6:7], v[6:7], v[134:135], v[140:141]
	v_mov_b32_e32 v134, v86
	v_mov_b32_e32 v86, v87
	;; [unrolled: 1-line block ×6, first 2 shown]
	v_pk_mul_f32 v[86:87], v[86:87], v[52:53]
	v_mov_b32_e32 v172, v55
	v_mov_b32_e32 v173, v48
	v_pk_fma_f32 v[90:91], v[134:135], v[174:175], v[86:87] neg_lo:[0,0,1] neg_hi:[0,0,1]
	v_pk_fma_f32 v[86:87], v[134:135], v[174:175], v[86:87]
	v_mov_b32_e32 v134, v195
	v_mov_b32_e32 v135, v83
	v_mul_f32_e32 v150, v0, v51
	v_pk_mul_f32 v[134:135], v[134:135], v[172:173]
	v_mov_b32_e32 v140, v194
	v_mov_b32_e32 v141, v82
	v_mov_b32_e32 v154, v54
	v_mov_b32_e32 v155, v49
	v_fmac_f32_e32 v150, v1, v50
	v_pk_fma_f32 v[82:83], v[194:195], v[54:55], v[134:135] neg_lo:[0,0,1] neg_hi:[0,0,1]
	v_accvgpr_write_b32 a68, v154
	v_pk_fma_f32 v[134:135], v[140:141], v[154:155], v[134:135]
	v_mov_b32_e32 v140, v0
	v_mov_b32_e32 v141, v194
	;; [unrolled: 1-line block ×5, first 2 shown]
	v_accvgpr_write_b32 a69, v155
	v_mov_b32_e32 v154, v50
	v_mov_b32_e32 v155, v55
	v_pk_mul_f32 v[0:1], v[194:195], v[0:1]
	v_mov_b32_e32 v143, v7
	v_mov_b32_e32 v83, v135
	v_pk_fma_f32 v[156:157], v[140:141], v[154:155], v[0:1] neg_lo:[0,0,1] neg_hi:[0,0,1]
	v_pk_fma_f32 v[0:1], v[140:141], v[154:155], v[0:1]
	v_mov_b32_e32 v91, v87
	v_mov_b32_e32 v157, v1
	;; [unrolled: 1-line block ×6, first 2 shown]
	v_pk_add_f32 v[134:135], v[142:143], v[82:83]
	v_mov_b32_e32 v0, v1
	v_mov_b32_e32 v1, v82
	;; [unrolled: 1-line block ×4, first 2 shown]
	v_add_f32_e32 v111, v138, v150
	v_add_f32_e32 v108, v145, v149
	v_pk_add_f32 v[138:139], v[138:139], v[150:151] neg_lo:[0,1] neg_hi:[0,1]
	v_pk_add_f32 v[6:7], v[144:145], v[148:149] neg_lo:[0,1] neg_hi:[0,1]
	v_pk_add_f32 v[90:91], v[90:91], v[156:157]
	v_pk_add_f32 v[0:1], v[0:1], v[82:83] neg_lo:[0,1] neg_hi:[0,1]
	v_add_f32_e32 v82, v108, v90
	v_add_f32_e32 v87, v135, v111
	v_mov_b32_e32 v110, v134
	v_mov_b32_e32 v109, v91
	;; [unrolled: 1-line block ×8, first 2 shown]
	v_pk_add_f32 v[140:141], v[110:111], v[108:109] neg_lo:[0,1] neg_hi:[0,1]
	v_pk_add_f32 v[144:145], v[0:1], v[6:7]
	v_pk_add_f32 v[148:149], v[148:149], v[150:151] neg_lo:[0,1] neg_hi:[0,1]
	v_mov_b32_e32 v150, v138
	v_mov_b32_e32 v1, v7
	v_pk_add_f32 v[82:83], v[82:83], v[86:87]
	v_pk_add_f32 v[142:143], v[90:91], v[134:135] neg_lo:[0,1] neg_hi:[0,1]
	v_pk_add_f32 v[0:1], v[150:151], v[0:1] neg_lo:[0,1] neg_hi:[0,1]
	v_pk_add_f32 v[96:97], v[96:97], v[82:83]
	v_pk_mul_f32 v[140:141], v[140:141], s[14:15]
	v_pk_mul_f32 v[148:149], v[148:149], s[22:23]
	v_pk_add_f32 v[86:87], v[144:145], v[138:139]
	v_pk_mul_f32 v[144:145], v[142:143], s[18:19]
	v_pk_mul_f32 v[150:151], v[0:1], s[20:21]
	v_pk_fma_f32 v[82:83], v[82:83], s[12:13], v[96:97] op_sel_hi:[1,0,1] neg_lo:[1,0,0] neg_hi:[1,0,0]
	v_pk_fma_f32 v[142:143], v[142:143], s[18:19], v[140:141]
	v_pk_fma_f32 v[0:1], v[0:1], s[20:21], v[148:149]
	v_pk_add_f32 v[142:143], v[142:143], v[82:83]
	v_pk_fma_f32 v[0:1], v[86:87], s[8:9], v[0:1] op_sel_hi:[1,0,1]
	v_mov_b32_e32 v156, v89
	v_mov_b32_e32 v157, v94
	v_mul_f32_e32 v122, v84, v33
	v_pk_add_f32 v[154:155], v[142:143], v[0:1] neg_lo:[0,1] neg_hi:[0,1]
	v_pk_add_f32 v[0:1], v[142:143], v[0:1]
	v_mov_b32_e32 v142, v88
	v_mov_b32_e32 v143, v95
	v_pk_mul_f32 v[92:93], v[156:157], v[92:93]
	v_fmac_f32_e32 v122, v85, v32
	v_pk_fma_f32 v[94:95], v[88:89], v[24:25], v[92:93] neg_lo:[0,0,1] neg_hi:[0,0,1]
	v_pk_fma_f32 v[92:93], v[142:143], v[162:163], v[92:93]
	v_mov_b32_e32 v142, v84
	v_mov_b32_e32 v84, v85
	;; [unrolled: 1-line block ×4, first 2 shown]
	v_pk_mul_f32 v[84:85], v[84:85], v[158:159]
	v_mov_b32_e32 v156, v71
	v_mov_b32_e32 v157, v80
	v_mul_f32_e32 v124, v78, v31
	v_pk_fma_f32 v[88:89], v[142:143], v[146:147], v[84:85] neg_lo:[0,0,1] neg_hi:[0,0,1]
	v_pk_fma_f32 v[84:85], v[142:143], v[146:147], v[84:85]
	v_mov_b32_e32 v142, v70
	v_mov_b32_e32 v143, v81
	v_pk_mul_f32 v[80:81], v[156:157], v[196:197]
	v_fmac_f32_e32 v124, v79, v30
	v_pk_fma_f32 v[156:157], v[70:71], v[26:27], v[80:81] neg_lo:[0,0,1] neg_hi:[0,0,1]
	v_pk_fma_f32 v[80:81], v[142:143], v[166:167], v[80:81]
	v_mov_b32_e32 v142, v78
	v_mov_b32_e32 v78, v79
	v_mov_b32_e32 v79, v70
	v_mov_b32_e32 v143, v71
	v_pk_mul_f32 v[68:69], v[78:79], v[68:69]
	v_mov_b32_e32 v95, v93
	v_pk_fma_f32 v[70:71], v[142:143], v[168:169], v[68:69] neg_lo:[0,0,1] neg_hi:[0,0,1]
	v_pk_fma_f32 v[68:69], v[142:143], v[168:169], v[68:69]
	v_mov_b32_e32 v89, v85
	v_mov_b32_e32 v157, v81
	;; [unrolled: 1-line block ×11, first 2 shown]
	v_add_f32_e32 v117, v122, v124
	v_add_f32_e32 v114, v119, v121
	v_pk_add_f32 v[78:79], v[122:123], v[124:125] neg_lo:[0,1] neg_hi:[0,1]
	v_pk_add_f32 v[80:81], v[118:119], v[120:121] neg_lo:[0,1] neg_hi:[0,1]
	v_pk_add_f32 v[92:93], v[94:95], v[156:157]
	v_pk_add_f32 v[70:71], v[88:89], v[70:71]
	v_pk_add_f32 v[68:69], v[68:69], v[84:85] neg_lo:[0,1] neg_hi:[0,1]
	v_add_f32_e32 v84, v114, v70
	v_add_f32_e32 v89, v93, v117
	v_mov_b32_e32 v116, v92
	v_mov_b32_e32 v115, v71
	;; [unrolled: 1-line block ×8, first 2 shown]
	v_pk_add_f32 v[94:95], v[116:117], v[114:115] neg_lo:[0,1] neg_hi:[0,1]
	v_pk_add_f32 v[120:121], v[68:69], v[80:81]
	v_pk_add_f32 v[122:123], v[122:123], v[124:125] neg_lo:[0,1] neg_hi:[0,1]
	v_mov_b32_e32 v124, v78
	v_mov_b32_e32 v69, v81
	v_pk_add_f32 v[84:85], v[84:85], v[88:89]
	v_pk_add_f32 v[118:119], v[70:71], v[92:93] neg_lo:[0,1] neg_hi:[0,1]
	v_pk_add_f32 v[68:69], v[124:125], v[68:69] neg_lo:[0,1] neg_hi:[0,1]
	v_pk_add_f32 v[74:75], v[74:75], v[84:85]
	v_pk_mul_f32 v[94:95], v[94:95], s[14:15]
	v_pk_mul_f32 v[122:123], v[122:123], s[22:23]
	v_pk_add_f32 v[88:89], v[120:121], v[78:79]
	v_pk_mul_f32 v[120:121], v[118:119], s[18:19]
	v_pk_mul_f32 v[124:125], v[68:69], s[20:21]
	v_pk_fma_f32 v[84:85], v[84:85], s[12:13], v[74:75] op_sel_hi:[1,0,1] neg_lo:[1,0,0] neg_hi:[1,0,0]
	v_pk_fma_f32 v[118:119], v[118:119], s[18:19], v[94:95]
	v_pk_fma_f32 v[68:69], v[68:69], s[20:21], v[122:123]
	v_pk_add_f32 v[198:199], v[160:161], v[76:77]
	v_pk_add_f32 v[76:77], v[160:161], v[76:77] neg_lo:[0,1] neg_hi:[0,1]
	v_pk_add_f32 v[118:119], v[118:119], v[84:85]
	v_pk_fma_f32 v[68:69], v[88:89], s[8:9], v[68:69] op_sel_hi:[1,0,1]
	v_mov_b32_e32 v115, v93
	v_pk_add_f32 v[142:143], v[118:119], v[68:69] neg_lo:[0,1] neg_hi:[0,1]
	v_pk_add_f32 v[68:69], v[118:119], v[68:69]
	v_mov_b32_e32 v118, v198
	v_mov_b32_e32 v119, v77
	ds_write2_b64 v136, v[72:73], v[118:119] offset1:91
	v_mov_b32_e32 v72, v152
	v_mov_b32_e32 v73, v5
	;; [unrolled: 1-line block ×8, first 2 shown]
	ds_write2_b64 v133, v[72:73], v[118:119] offset0:54 offset1:145
	ds_write2_b64 v128, v[2:3], v[4:5] offset0:108 offset1:199
	;; [unrolled: 1-line block ×3, first 2 shown]
	v_pk_add_f32 v[4:5], v[114:115], v[70:71] neg_lo:[0,1] neg_hi:[0,1]
	v_pk_add_f32 v[70:71], v[80:81], v[78:79] neg_lo:[0,1] neg_hi:[0,1]
	v_mov_b32_e32 v72, v120
	v_mov_b32_e32 v73, v95
	;; [unrolled: 1-line block ×4, first 2 shown]
	v_pk_fma_f32 v[72:73], v[4:5], s[26:27], v[72:73] op_sel_hi:[1,0,1] neg_lo:[1,0,1] neg_hi:[1,0,1]
	v_pk_fma_f32 v[74:75], v[70:71], s[24:25], v[74:75] op_sel_hi:[1,0,1] neg_lo:[1,0,1] neg_hi:[1,0,1]
	v_pk_add_f32 v[72:73], v[72:73], v[84:85]
	v_pk_fma_f32 v[74:75], v[88:89], s[8:9], v[74:75] op_sel_hi:[1,0,1]
	v_mov_b32_e32 v2, v68
	v_pk_add_f32 v[76:77], v[72:73], v[74:75] neg_lo:[0,1] neg_hi:[0,1]
	v_pk_add_f32 v[72:73], v[72:73], v[74:75]
	v_mov_b32_e32 v3, v143
	v_mov_b32_e32 v74, v72
	;; [unrolled: 1-line block ×5, first 2 shown]
	ds_write2_b64 v129, v[2:3], v[74:75] offset0:88 offset1:179
	v_pk_fma_f32 v[2:3], v[4:5], s[26:27], v[94:95] op_sel_hi:[1,0,1] neg_lo:[0,0,1] neg_hi:[0,0,1]
	v_pk_fma_f32 v[4:5], v[70:71], s[24:25], v[122:123] op_sel_hi:[1,0,1] neg_lo:[0,0,1] neg_hi:[0,0,1]
	v_pk_add_f32 v[2:3], v[2:3], v[84:85]
	v_pk_fma_f32 v[4:5], v[88:89], s[8:9], v[4:5] op_sel_hi:[1,0,1]
	v_mov_b32_e32 v77, v73
	v_pk_add_f32 v[70:71], v[2:3], v[4:5]
	v_pk_add_f32 v[2:3], v[2:3], v[4:5] neg_lo:[0,1] neg_hi:[0,1]
	v_mov_b32_e32 v5, v71
	v_mov_b32_e32 v4, v2
	v_mov_b32_e32 v71, v3
	v_mov_b32_e32 v143, v69
	v_mov_b32_e32 v2, v0
	v_mov_b32_e32 v3, v155
	v_add_u32_e32 v0, 0x2400, v60
	v_mov_b32_e32 v109, v135
	v_mov_b32_e32 v91, v111
	ds_write2_b64 v131, v[4:5], v[70:71] offset0:142 offset1:233
	ds_write2_b64 v130, v[76:77], v[142:143] offset0:68 offset1:159
	;; [unrolled: 1-line block ×3, first 2 shown]
	v_pk_add_f32 v[2:3], v[108:109], v[90:91] neg_lo:[0,1] neg_hi:[0,1]
	v_pk_add_f32 v[4:5], v[6:7], v[138:139] neg_lo:[0,1] neg_hi:[0,1]
	v_mov_b32_e32 v6, v144
	v_mov_b32_e32 v7, v141
	;; [unrolled: 1-line block ×6, first 2 shown]
	v_pk_fma_f32 v[6:7], v[2:3], s[26:27], v[6:7] op_sel_hi:[1,0,1] neg_lo:[1,0,1] neg_hi:[1,0,1]
	v_pk_fma_f32 v[68:69], v[4:5], s[24:25], v[68:69] op_sel_hi:[1,0,1] neg_lo:[1,0,1] neg_hi:[1,0,1]
	;; [unrolled: 1-line block ×4, first 2 shown]
	v_pk_add_f32 v[6:7], v[6:7], v[82:83]
	v_pk_fma_f32 v[68:69], v[86:87], s[8:9], v[68:69] op_sel_hi:[1,0,1]
	v_pk_add_f32 v[2:3], v[2:3], v[82:83]
	v_pk_fma_f32 v[4:5], v[86:87], s[8:9], v[4:5] op_sel_hi:[1,0,1]
	v_pk_add_f32 v[70:71], v[6:7], v[68:69] neg_lo:[0,1] neg_hi:[0,1]
	v_pk_add_f32 v[6:7], v[6:7], v[68:69]
	v_pk_add_f32 v[72:73], v[2:3], v[4:5]
	v_pk_add_f32 v[2:3], v[2:3], v[4:5] neg_lo:[0,1] neg_hi:[0,1]
	v_mov_b32_e32 v68, v6
	v_mov_b32_e32 v69, v71
	;; [unrolled: 1-line block ×4, first 2 shown]
	v_add_u32_e32 v0, 0x2c00, v60
	ds_write2_b64 v0, v[68:69], v[4:5] offset0:48 offset1:139
	v_mov_b32_e32 v73, v3
	v_mov_b32_e32 v71, v7
	v_add_u32_e32 v0, 0x3000, v60
	ds_write2_b64 v0, v[72:73], v[70:71] offset0:102 offset1:193
	v_mov_b32_e32 v155, v1
	v_lshl_add_u64 v[0:1], s[0:1], 0, v[106:107]
	v_lshlrev_b32_e32 v106, 4, v102
	v_lshl_add_u64 v[2:3], s[0:1], 0, v[106:107]
	v_add_u32_e32 v106, 0x1110, v101
	v_lshl_add_u64 v[4:5], s[0:1], 0, v[106:107]
	v_add_u32_e32 v106, 0x16c0, v101
	;; [unrolled: 2-line block ×4, first 2 shown]
	v_lshl_add_u64 v[68:69], s[0:1], 0, v[106:107]
	v_add_co_u32_e32 v68, vcc, s9, v68
	ds_write_b64 v60, v[154:155] offset:14560
	s_nop 0
	v_addc_co_u32_e32 v69, vcc, 0, v69, vcc
	s_waitcnt lgkmcnt(0)
	s_barrier
	global_load_dwordx4 v[68:71], v[68:69], off offset:896
	v_add_co_u32_e32 v72, vcc, s9, v72
	v_lshlrev_b32_e32 v24, 5, v62
	s_nop 0
	v_addc_co_u32_e32 v73, vcc, 0, v73, vcc
	global_load_dwordx4 v[72:75], v[72:73], off offset:896
	v_sub_co_u32_e32 v24, vcc, v104, v24
	ds_read2_b64 v[96:99], v130 offset0:68 offset1:159
	s_nop 0
	v_subbrev_co_u32_e32 v55, vcc, 0, v105, vcc
	v_add_co_u32_e32 v76, vcc, s9, v24
	s_mov_b32 s0, 0x3f5db3d7
	s_nop 0
	v_addc_co_u32_e32 v77, vcc, 0, v55, vcc
	global_load_dwordx4 v[92:95], v[76:77], off offset:896
	v_add_co_u32_e32 v6, vcc, s9, v6
	s_movk_i32 s8, 0x3000
	s_nop 0
	v_addc_co_u32_e32 v7, vcc, 0, v7, vcc
	v_add_co_u32_e32 v0, vcc, s9, v0
	global_load_dwordx4 v[76:79], v[6:7], off offset:896
	s_nop 0
	v_addc_co_u32_e32 v1, vcc, 0, v1, vcc
	global_load_dwordx4 v[88:91], v[0:1], off offset:896
	v_add_co_u32_e32 v0, vcc, s9, v2
	v_accvgpr_write_b32 a56, v174
	s_nop 0
	v_addc_co_u32_e32 v1, vcc, 0, v3, vcc
	v_add_co_u32_e32 v2, vcc, s9, v4
	v_accvgpr_write_b32 a54, v172
	s_nop 0
	v_addc_co_u32_e32 v3, vcc, 0, v5, vcc
	global_load_dwordx4 v[84:87], v[0:1], off offset:896
	global_load_dwordx4 v[80:83], v[2:3], off offset:896
	ds_read_b64 v[2:3], v136 offset:14560
	v_accvgpr_write_b32 a44, v146
	v_accvgpr_write_b32 a46, v168
	;; [unrolled: 1-line block ×6, first 2 shown]
	s_movk_i32 s12, 0x2000
	v_accvgpr_write_b32 a70, v51
	s_waitcnt vmcnt(6)
	v_mov_b32_e32 v0, v69
	s_waitcnt lgkmcnt(1)
	v_pk_mul_f32 v[0:1], v[98:99], v[0:1] op_sel:[1,0] op_sel_hi:[0,1]
	v_pk_fma_f32 v[0:1], v[98:99], v[68:69], v[0:1] neg_lo:[0,0,1] neg_hi:[0,0,1]
	v_pk_mul_f32 v[4:5], v[98:99], v[68:69] op_sel:[1,0] op_sel_hi:[0,1]
	v_mov_b32_e32 v1, v4
	v_pk_fma_f32 v[4:5], v[98:99], v[68:69], v[0:1] op_sel:[1,0,0] op_sel_hi:[0,1,1]
	s_waitcnt lgkmcnt(0)
	v_pk_mul_f32 v[98:99], v[2:3], v[70:71] op_sel:[1,0] op_sel_hi:[0,1]
	v_mov_b32_e32 v1, v98
	ds_read2_b64 v[98:101], v128 offset0:108 offset1:199
	ds_read2_b64 v[114:117], v43 offset0:102 offset1:193
	v_mov_b32_e32 v4, v71
	v_pk_mul_f32 v[6:7], v[2:3], v[4:5] op_sel:[1,0] op_sel_hi:[0,1]
	v_pk_fma_f32 v[6:7], v[2:3], v[70:71], v[6:7] neg_lo:[0,0,1] neg_hi:[0,0,1]
	v_pk_fma_f32 v[2:3], v[2:3], v[70:71], v[0:1] op_sel:[1,0,0] op_sel_hi:[0,1,1]
	s_waitcnt vmcnt(5)
	v_pk_mul_f32 v[102:103], v[96:97], v[72:73] op_sel:[0,1]
	v_mov_b32_e32 v2, v75
	v_pk_fma_f32 v[104:105], v[96:97], v[72:73], v[102:103] op_sel:[0,0,1] op_sel_hi:[1,1,0] neg_lo:[0,0,1] neg_hi:[0,0,1]
	v_pk_fma_f32 v[96:97], v[96:97], v[72:73], v[102:103] op_sel:[0,0,1] op_sel_hi:[1,0,0]
	ds_read2_b64 v[108:111], v126 offset0:34 offset1:125
	v_mov_b32_e32 v105, v97
	s_waitcnt lgkmcnt(1)
	v_pk_mul_f32 v[96:97], v[116:117], v[2:3] op_sel_hi:[1,0]
	v_mov_b32_e32 v1, v5
	v_pk_fma_f32 v[102:103], v[116:117], v[74:75], v[96:97] op_sel:[0,0,1] op_sel_hi:[1,1,0] neg_lo:[0,0,1] neg_hi:[0,0,1]
	v_pk_fma_f32 v[96:97], v[116:117], v[74:75], v[96:97] op_sel:[0,0,1] op_sel_hi:[1,0,0]
	ds_read2_b64 v[116:119], v136 offset1:91
	ds_read2_b64 v[120:123], v127 offset0:122 offset1:213
	v_mov_b32_e32 v103, v97
	v_pk_add_f32 v[96:97], v[104:105], v[102:103]
	v_pk_add_f32 v[106:107], v[104:105], v[102:103] neg_lo:[0,1] neg_hi:[0,1]
	v_pk_fma_f32 v[96:97], v[96:97], 0.5, v[100:101] op_sel_hi:[1,0,1] neg_lo:[1,0,0] neg_hi:[1,0,0]
	v_pk_mul_f32 v[106:107], v[106:107], s[0:1] op_sel_hi:[1,0]
	s_waitcnt lgkmcnt(2)
	v_pk_add_f32 v[4:5], v[108:109], v[0:1]
	v_mov_b32_e32 v7, v3
	v_pk_add_f32 v[100:101], v[100:101], v[104:105]
	v_pk_add_f32 v[134:135], v[96:97], v[106:107] op_sel:[0,1] op_sel_hi:[1,0]
	v_pk_add_f32 v[104:105], v[96:97], v[106:107] op_sel:[0,1] op_sel_hi:[1,0] neg_lo:[0,1] neg_hi:[0,1]
	v_pk_add_f32 v[106:107], v[4:5], v[6:7]
	s_waitcnt vmcnt(4)
	v_pk_mul_f32 v[4:5], v[110:111], v[92:93] op_sel:[0,1]
	v_pk_add_f32 v[2:3], v[0:1], v[6:7]
	v_pk_add_f32 v[0:1], v[0:1], v[6:7] neg_lo:[0,1] neg_hi:[0,1]
	v_pk_fma_f32 v[6:7], v[110:111], v[92:93], v[4:5] op_sel:[0,0,1] op_sel_hi:[1,1,0] neg_lo:[0,0,1] neg_hi:[0,0,1]
	v_pk_fma_f32 v[4:5], v[110:111], v[92:93], v[4:5] op_sel:[0,0,1] op_sel_hi:[1,0,0]
	v_pk_fma_f32 v[2:3], v[2:3], 0.5, v[108:109] op_sel_hi:[1,0,1] neg_lo:[1,0,0] neg_hi:[1,0,0]
	v_mov_b32_e32 v4, v95
	v_mov_b32_e32 v7, v5
	s_waitcnt lgkmcnt(0)
	v_pk_mul_f32 v[4:5], v[120:121], v[4:5] op_sel_hi:[1,0]
	v_pk_mul_f32 v[0:1], v[0:1], s[0:1] op_sel_hi:[1,0]
	v_pk_fma_f32 v[96:97], v[120:121], v[94:95], v[4:5] op_sel:[0,0,1] op_sel_hi:[1,1,0] neg_lo:[0,0,1] neg_hi:[0,0,1]
	v_pk_fma_f32 v[4:5], v[120:121], v[94:95], v[4:5] op_sel:[0,0,1] op_sel_hi:[1,0,0]
	v_pk_add_f32 v[100:101], v[100:101], v[102:103]
	v_mov_b32_e32 v97, v5
	v_pk_add_f32 v[4:5], v[6:7], v[96:97]
	v_pk_add_f32 v[108:109], v[6:7], v[96:97] neg_lo:[0,1] neg_hi:[0,1]
	v_pk_fma_f32 v[4:5], v[4:5], 0.5, v[116:117] op_sel_hi:[1,0,1] neg_lo:[1,0,0] neg_hi:[1,0,0]
	v_pk_mul_f32 v[108:109], v[108:109], s[0:1] op_sel_hi:[1,0]
	v_mov_b32_e32 v103, v105
	v_pk_add_f32 v[110:111], v[4:5], v[108:109] op_sel:[0,1] op_sel_hi:[1,0]
	v_pk_add_f32 v[4:5], v[4:5], v[108:109] op_sel:[0,1] op_sel_hi:[1,0] neg_lo:[0,1] neg_hi:[0,1]
	v_mov_b32_e32 v108, v110
	v_mov_b32_e32 v109, v5
	;; [unrolled: 1-line block ×3, first 2 shown]
	ds_write_b64 v136, v[108:109] offset:5096
	ds_write_b64 v136, v[4:5] offset:10192
	ds_read2_b64 v[140:143], v129 offset0:88 offset1:179
	v_pk_add_f32 v[4:5], v[2:3], v[0:1] op_sel:[0,1] op_sel_hi:[1,0]
	v_pk_add_f32 v[110:111], v[2:3], v[0:1] op_sel:[0,1] op_sel_hi:[1,0] neg_lo:[0,1] neg_hi:[0,1]
	v_mov_b32_e32 v108, v4
	v_mov_b32_e32 v109, v111
	s_waitcnt vmcnt(2) lgkmcnt(0)
	v_pk_mul_f32 v[0:1], v[140:141], v[88:89] op_sel:[0,1]
	v_mov_b32_e32 v111, v5
	v_pk_fma_f32 v[2:3], v[140:141], v[88:89], v[0:1] op_sel:[0,0,1] op_sel_hi:[1,1,0] neg_lo:[0,0,1] neg_hi:[0,0,1]
	v_pk_fma_f32 v[0:1], v[140:141], v[88:89], v[0:1] op_sel:[0,0,1] op_sel_hi:[1,0,0]
	v_mov_b32_e32 v105, v135
	v_mov_b32_e32 v0, v91
	;; [unrolled: 1-line block ×3, first 2 shown]
	v_pk_mul_f32 v[0:1], v[122:123], v[0:1] op_sel_hi:[1,0]
	v_mov_b32_e32 v102, v134
	v_pk_fma_f32 v[120:121], v[122:123], v[90:91], v[0:1] op_sel:[0,0,1] op_sel_hi:[1,1,0] neg_lo:[0,0,1] neg_hi:[0,0,1]
	v_pk_fma_f32 v[0:1], v[122:123], v[90:91], v[0:1] op_sel:[0,0,1] op_sel_hi:[1,0,0]
	s_nop 0
	v_mov_b32_e32 v121, v1
	v_pk_add_f32 v[0:1], v[118:119], v[2:3]
	v_pk_add_f32 v[122:123], v[2:3], v[120:121]
	v_pk_add_f32 v[2:3], v[2:3], v[120:121] neg_lo:[0,1] neg_hi:[0,1]
	v_pk_fma_f32 v[118:119], v[122:123], 0.5, v[118:119] op_sel_hi:[1,0,1] neg_lo:[1,0,0] neg_hi:[1,0,0]
	v_pk_mul_f32 v[2:3], v[2:3], s[0:1] op_sel_hi:[1,0]
	v_pk_add_f32 v[0:1], v[0:1], v[120:121]
	v_pk_add_f32 v[120:121], v[118:119], v[2:3] op_sel:[0,1] op_sel_hi:[1,0]
	v_pk_add_f32 v[2:3], v[118:119], v[2:3] op_sel:[0,1] op_sel_hi:[1,0] neg_lo:[0,1] neg_hi:[0,1]
	v_mov_b32_e32 v118, v120
	v_mov_b32_e32 v119, v3
	;; [unrolled: 1-line block ×3, first 2 shown]
	ds_write_b64 v136, v[118:119] offset:5824
	ds_write_b64 v136, v[2:3] offset:10920
	ds_read2_b64 v[118:121], v133 offset0:54 offset1:145
	ds_read2_b64 v[122:125], v132 offset0:48 offset1:139
	s_waitcnt vmcnt(1)
	v_pk_mul_f32 v[2:3], v[142:143], v[84:85] op_sel:[0,1]
	s_nop 0
	v_pk_fma_f32 v[138:139], v[142:143], v[84:85], v[2:3] op_sel:[0,0,1] op_sel_hi:[1,1,0] neg_lo:[0,0,1] neg_hi:[0,0,1]
	v_pk_fma_f32 v[2:3], v[142:143], v[84:85], v[2:3] op_sel:[0,0,1] op_sel_hi:[1,0,0]
	s_nop 0
	v_mov_b32_e32 v2, v87
	v_mov_b32_e32 v139, v3
	s_waitcnt lgkmcnt(0)
	v_pk_mul_f32 v[2:3], v[122:123], v[2:3] op_sel_hi:[1,0]
	s_nop 0
	v_pk_fma_f32 v[144:145], v[122:123], v[86:87], v[2:3] op_sel:[0,0,1] op_sel_hi:[1,1,0] neg_lo:[0,0,1] neg_hi:[0,0,1]
	v_pk_fma_f32 v[2:3], v[122:123], v[86:87], v[2:3] op_sel:[0,0,1] op_sel_hi:[1,0,0]
	s_nop 0
	v_mov_b32_e32 v145, v3
	v_pk_add_f32 v[2:3], v[116:117], v[6:7]
	s_nop 0
	v_pk_add_f32 v[2:3], v[2:3], v[96:97]
	ds_write2_b64 v136, v[2:3], v[0:1] offset1:91
	v_pk_add_f32 v[0:1], v[138:139], v[144:145]
	v_pk_add_f32 v[2:3], v[138:139], v[144:145] neg_lo:[0,1] neg_hi:[0,1]
	v_pk_fma_f32 v[0:1], v[0:1], 0.5, v[118:119] op_sel_hi:[1,0,1] neg_lo:[1,0,0] neg_hi:[1,0,0]
	v_pk_mul_f32 v[2:3], v[2:3], s[0:1] op_sel_hi:[1,0]
	s_nop 0
	v_pk_add_f32 v[6:7], v[0:1], v[2:3] op_sel:[0,1] op_sel_hi:[1,0]
	v_pk_add_f32 v[0:1], v[0:1], v[2:3] op_sel:[0,1] op_sel_hi:[1,0] neg_lo:[0,1] neg_hi:[0,1]
	v_mov_b32_e32 v2, v6
	v_mov_b32_e32 v3, v1
	;; [unrolled: 1-line block ×3, first 2 shown]
	ds_write_b64 v136, v[2:3] offset:6552
	ds_write_b64 v136, v[0:1] offset:11648
	ds_read2_b64 v[140:143], v131 offset0:142 offset1:233
	v_pk_add_f32 v[0:1], v[118:119], v[138:139]
	s_waitcnt vmcnt(0) lgkmcnt(0)
	v_pk_mul_f32 v[2:3], v[140:141], v[80:81] op_sel:[0,1]
	s_nop 0
	v_pk_fma_f32 v[4:5], v[140:141], v[80:81], v[2:3] op_sel:[0,0,1] op_sel_hi:[1,1,0] neg_lo:[0,0,1] neg_hi:[0,0,1]
	v_pk_fma_f32 v[2:3], v[140:141], v[80:81], v[2:3] op_sel:[0,0,1] op_sel_hi:[1,0,0]
	v_pk_add_f32 v[0:1], v[0:1], v[144:145]
	v_mov_b32_e32 v2, v83
	v_mov_b32_e32 v5, v3
	v_pk_mul_f32 v[2:3], v[124:125], v[2:3] op_sel_hi:[1,0]
	s_nop 0
	v_pk_fma_f32 v[6:7], v[124:125], v[82:83], v[2:3] op_sel:[0,0,1] op_sel_hi:[1,1,0] neg_lo:[0,0,1] neg_hi:[0,0,1]
	v_pk_fma_f32 v[2:3], v[124:125], v[82:83], v[2:3] op_sel:[0,0,1] op_sel_hi:[1,0,0]
	s_nop 0
	v_mov_b32_e32 v7, v3
	v_pk_add_f32 v[2:3], v[120:121], v[4:5]
	s_nop 0
	v_pk_add_f32 v[2:3], v[2:3], v[6:7]
	ds_write2_b64 v133, v[0:1], v[2:3] offset0:54 offset1:145
	v_pk_add_f32 v[0:1], v[4:5], v[6:7]
	v_pk_add_f32 v[2:3], v[4:5], v[6:7] neg_lo:[0,1] neg_hi:[0,1]
	v_pk_fma_f32 v[0:1], v[0:1], 0.5, v[120:121] op_sel_hi:[1,0,1] neg_lo:[1,0,0] neg_hi:[1,0,0]
	v_pk_mul_f32 v[2:3], v[2:3], s[0:1] op_sel_hi:[1,0]
	s_nop 0
	v_pk_add_f32 v[4:5], v[0:1], v[2:3] op_sel:[0,1] op_sel_hi:[1,0]
	v_pk_add_f32 v[0:1], v[0:1], v[2:3] op_sel:[0,1] op_sel_hi:[1,0] neg_lo:[0,1] neg_hi:[0,1]
	v_mov_b32_e32 v2, v4
	v_mov_b32_e32 v3, v1
	;; [unrolled: 1-line block ×3, first 2 shown]
	v_pk_mul_f32 v[4:5], v[142:143], v[76:77] op_sel:[0,1]
	s_nop 0
	v_pk_fma_f32 v[6:7], v[142:143], v[76:77], v[4:5] op_sel:[0,0,1] op_sel_hi:[1,1,0] neg_lo:[0,0,1] neg_hi:[0,0,1]
	v_pk_fma_f32 v[4:5], v[142:143], v[76:77], v[4:5] op_sel:[0,0,1] op_sel_hi:[1,0,0]
	s_nop 0
	v_mov_b32_e32 v4, v79
	v_mov_b32_e32 v7, v5
	v_pk_mul_f32 v[4:5], v[114:115], v[4:5] op_sel_hi:[1,0]
	s_nop 0
	v_pk_fma_f32 v[96:97], v[114:115], v[78:79], v[4:5] op_sel:[0,0,1] op_sel_hi:[1,1,0] neg_lo:[0,0,1] neg_hi:[0,0,1]
	v_pk_fma_f32 v[4:5], v[114:115], v[78:79], v[4:5] op_sel:[0,0,1] op_sel_hi:[1,0,0]
	s_nop 0
	v_mov_b32_e32 v97, v5
	v_pk_add_f32 v[4:5], v[6:7], v[96:97]
	v_pk_add_f32 v[114:115], v[6:7], v[96:97] neg_lo:[0,1] neg_hi:[0,1]
	v_pk_fma_f32 v[4:5], v[4:5], 0.5, v[98:99] op_sel_hi:[1,0,1] neg_lo:[1,0,0] neg_hi:[1,0,0]
	v_pk_mul_f32 v[114:115], v[114:115], s[0:1] op_sel_hi:[1,0]
	v_pk_add_f32 v[6:7], v[98:99], v[6:7]
	v_pk_add_f32 v[116:117], v[4:5], v[114:115] op_sel:[0,1] op_sel_hi:[1,0]
	v_pk_add_f32 v[98:99], v[4:5], v[114:115] op_sel:[0,1] op_sel_hi:[1,0] neg_lo:[0,1] neg_hi:[0,1]
	v_pk_add_f32 v[6:7], v[6:7], v[96:97]
	v_mov_b32_e32 v96, v116
	v_mov_b32_e32 v97, v99
	;; [unrolled: 1-line block ×3, first 2 shown]
	ds_write2_b64 v131, v[2:3], v[96:97] offset0:142 offset1:233
	ds_write2_b64 v43, v[0:1], v[98:99] offset0:11 offset1:102
	;; [unrolled: 1-line block ×3, first 2 shown]
	v_add_u32_e32 v0, 0x3400, v136
	ds_write_b64 v136, v[106:107] offset:4368
	ds_write2_b64 v130, v[102:103], v[108:109] offset0:68 offset1:159
	ds_write2_b64 v0, v[104:105], v[110:111] offset0:65 offset1:156
	v_add_co_u32_e32 v0, vcc, s8, v112
	s_waitcnt lgkmcnt(0)
	s_nop 0
	v_addc_co_u32_e32 v1, vcc, 0, v113, vcc
	s_barrier
	global_load_dwordx2 v[0:1], v[0:1], off offset:3000
	s_mov_b64 s[0:1], 0x3bb8
	v_lshl_add_u64 v[114:115], v[112:113], 0, s[0:1]
	global_load_dwordx2 v[2:3], v[114:115], off offset:1176
	global_load_dwordx2 v[4:5], v[114:115], off offset:2352
	;; [unrolled: 1-line block ×3, first 2 shown]
	s_movk_i32 s0, 0x4000
	v_add_co_u32_e32 v116, vcc, s0, v112
	s_movk_i32 s0, 0x5000
	s_nop 0
	v_addc_co_u32_e32 v117, vcc, 0, v113, vcc
	global_load_dwordx2 v[124:125], v[116:117], off offset:3608
	v_add_co_u32_e32 v116, vcc, s0, v112
	s_movk_i32 s0, 0x6000
	s_nop 0
	v_addc_co_u32_e32 v117, vcc, 0, v113, vcc
	global_load_dwordx2 v[130:131], v[116:117], off offset:688
	global_load_dwordx2 v[134:135], v[116:117], off offset:1864
	;; [unrolled: 1-line block ×3, first 2 shown]
	v_add_co_u32_e32 v116, vcc, s0, v112
	s_nop 1
	v_addc_co_u32_e32 v117, vcc, 0, v113, vcc
	global_load_dwordx2 v[140:141], v[116:117], off offset:120
	global_load_dwordx2 v[142:143], v[116:117], off offset:1296
	;; [unrolled: 1-line block ×4, first 2 shown]
	v_add_co_u32_e32 v112, vcc, 0x7000, v112
	ds_read2_b64 v[116:119], v136 offset1:147
	s_nop 0
	v_addc_co_u32_e32 v113, vcc, 0, v113, vcc
	global_load_dwordx2 v[112:113], v[112:113], off offset:728
	s_waitcnt vmcnt(12) lgkmcnt(0)
	v_mul_f32_e32 v24, v117, v1
	v_mul_f32_e32 v121, v116, v1
	v_fma_f32 v120, v116, v0, -v24
	v_fmac_f32_e32 v121, v117, v0
	s_waitcnt vmcnt(11)
	v_mul_f32_e32 v0, v119, v3
	v_mul_f32_e32 v1, v118, v3
	v_fma_f32 v0, v118, v2, -v0
	v_fmac_f32_e32 v1, v119, v2
	ds_write2_b64 v136, v[120:121], v[0:1] offset1:147
	ds_read2_b64 v[116:119], v128 offset0:38 offset1:185
	ds_read2_b64 v[120:123], v126 offset0:76 offset1:223
	v_add_u32_e32 v24, 0x1a00, v136
	s_waitcnt vmcnt(10) lgkmcnt(1)
	v_mul_f32_e32 v0, v117, v5
	v_mul_f32_e32 v1, v116, v5
	s_waitcnt vmcnt(9)
	v_mul_f32_e32 v2, v119, v7
	v_mul_f32_e32 v3, v118, v7
	v_fma_f32 v0, v116, v4, -v0
	v_fmac_f32_e32 v1, v117, v4
	v_fma_f32 v2, v118, v6, -v2
	v_fmac_f32_e32 v3, v119, v6
	ds_read2_b64 v[116:119], v24 offset0:50 offset1:197
	ds_write2_b64 v128, v[0:1], v[2:3] offset0:38 offset1:185
	s_waitcnt vmcnt(8) lgkmcnt(2)
	v_mul_f32_e32 v0, v121, v125
	v_mul_f32_e32 v1, v120, v125
	s_waitcnt vmcnt(7)
	v_mul_f32_e32 v2, v123, v131
	v_mul_f32_e32 v3, v122, v131
	v_fma_f32 v0, v120, v124, -v0
	v_fmac_f32_e32 v1, v121, v124
	v_fma_f32 v2, v122, v130, -v2
	v_fmac_f32_e32 v3, v123, v130
	ds_read2_b64 v[120:123], v127 offset0:24 offset1:171
	ds_write2_b64 v126, v[0:1], v[2:3] offset0:76 offset1:223
	s_waitcnt vmcnt(6) lgkmcnt(3)
	v_mul_f32_e32 v0, v117, v135
	v_mul_f32_e32 v1, v116, v135
	s_waitcnt vmcnt(5)
	v_mul_f32_e32 v2, v119, v139
	v_mul_f32_e32 v3, v118, v139
	v_fma_f32 v0, v116, v134, -v0
	v_fmac_f32_e32 v1, v117, v134
	v_fma_f32 v2, v118, v138, -v2
	v_fmac_f32_e32 v3, v119, v138
	ds_write2_b64 v24, v[0:1], v[2:3] offset0:50 offset1:197
	s_waitcnt vmcnt(4) lgkmcnt(2)
	v_mul_f32_e32 v0, v121, v141
	v_mul_f32_e32 v1, v120, v141
	s_waitcnt vmcnt(3)
	v_mul_f32_e32 v2, v123, v143
	ds_read2_b64 v[116:119], v132 offset0:62 offset1:209
	v_mul_f32_e32 v3, v122, v143
	v_fma_f32 v0, v120, v140, -v0
	v_fmac_f32_e32 v1, v121, v140
	v_fma_f32 v2, v122, v142, -v2
	v_fmac_f32_e32 v3, v123, v142
	ds_write2_b64 v127, v[0:1], v[2:3] offset0:24 offset1:171
	ds_read_b64 v[2:3], v136 offset:14112
	s_waitcnt vmcnt(2) lgkmcnt(2)
	v_mul_f32_e32 v0, v117, v145
	v_mul_f32_e32 v1, v116, v145
	s_waitcnt vmcnt(1)
	v_mul_f32_e32 v4, v119, v149
	v_mul_f32_e32 v5, v118, v149
	v_fma_f32 v0, v116, v144, -v0
	v_fmac_f32_e32 v1, v117, v144
	v_fma_f32 v4, v118, v148, -v4
	v_fmac_f32_e32 v5, v119, v148
	ds_write2_b64 v132, v[0:1], v[4:5] offset0:62 offset1:209
	s_waitcnt vmcnt(0) lgkmcnt(1)
	v_mul_f32_e32 v0, v3, v113
	v_mul_f32_e32 v1, v2, v113
	v_fma_f32 v0, v2, v112, -v0
	v_fmac_f32_e32 v1, v3, v112
	ds_write_b64 v136, v[0:1] offset:14112
	s_and_saveexec_b64 s[0:1], s[2:3]
	s_cbranch_execz .LBB0_9
; %bb.8:
	v_add_co_u32_e32 v6, vcc, s9, v114
	global_load_dwordx2 v[0:1], v[114:115], off offset:728
	global_load_dwordx2 v[2:3], v[114:115], off offset:1904
	;; [unrolled: 1-line block ×3, first 2 shown]
	v_addc_co_u32_e32 v7, vcc, 0, v115, vcc
	v_add_co_u32_e32 v112, vcc, s12, v114
	global_load_dwordx2 v[124:125], v[6:7], off offset:160
	global_load_dwordx2 v[130:131], v[6:7], off offset:1336
	;; [unrolled: 1-line block ×3, first 2 shown]
	v_addc_co_u32_e32 v113, vcc, 0, v115, vcc
	global_load_dwordx2 v[6:7], v[6:7], off offset:3688
	s_nop 0
	global_load_dwordx2 v[138:139], v[112:113], off offset:768
	global_load_dwordx2 v[144:145], v[112:113], off offset:1944
	;; [unrolled: 1-line block ×3, first 2 shown]
	v_add_co_u32_e32 v112, vcc, s8, v114
	v_add_u32_e32 v55, 0xc00, v136
	s_nop 0
	v_addc_co_u32_e32 v113, vcc, 0, v115, vcc
	global_load_dwordx2 v[150:151], v[112:113], off offset:200
	global_load_dwordx2 v[152:153], v[112:113], off offset:1376
	global_load_dwordx2 v[154:155], v[112:113], off offset:2552
	ds_read2_b64 v[112:115], v136 offset0:91 offset1:238
	ds_read2_b64 v[116:119], v129 offset0:39 offset1:186
	v_add_u32_e32 v60, 0x1c00, v136
	v_add_u32_e32 v61, 0x2600, v136
	ds_read2_b64 v[120:123], v43 offset0:25 offset1:172
	ds_read2_b64 v[140:143], v55 offset0:1 offset1:148
	;; [unrolled: 1-line block ×4, first 2 shown]
	s_waitcnt vmcnt(12) lgkmcnt(5)
	v_mul_f32_e32 v62, v113, v1
	v_mul_f32_e32 v157, v112, v1
	s_waitcnt vmcnt(11)
	v_mul_f32_e32 v63, v115, v3
	v_mul_f32_e32 v1, v114, v3
	s_waitcnt vmcnt(10) lgkmcnt(2)
	v_mul_f32_e32 v133, v141, v5
	v_mul_f32_e32 v3, v140, v5
	v_fma_f32 v156, v112, v0, -v62
	v_fmac_f32_e32 v157, v113, v0
	v_fma_f32 v0, v114, v2, -v63
	v_fmac_f32_e32 v1, v115, v2
	;; [unrolled: 2-line block ×3, first 2 shown]
	s_waitcnt vmcnt(9)
	v_mul_f32_e32 v4, v143, v125
	v_mul_f32_e32 v5, v142, v125
	s_waitcnt vmcnt(8)
	v_mul_f32_e32 v62, v117, v131
	v_mul_f32_e32 v113, v116, v131
	;; [unrolled: 3-line block ×3, first 2 shown]
	s_waitcnt vmcnt(6) lgkmcnt(1)
	v_mul_f32_e32 v133, v195, v7
	v_mul_f32_e32 v125, v194, v7
	s_waitcnt vmcnt(5)
	v_mul_f32_e32 v140, v197, v139
	v_mul_f32_e32 v7, v196, v139
	s_waitcnt vmcnt(4) lgkmcnt(0)
	v_mul_f32_e32 v141, v199, v145
	v_mul_f32_e32 v131, v198, v145
	s_waitcnt vmcnt(3)
	v_mul_f32_e32 v145, v201, v149
	v_mul_f32_e32 v135, v200, v149
	v_fma_f32 v4, v142, v124, -v4
	v_fmac_f32_e32 v5, v143, v124
	ds_write2_b64 v136, v[156:157], v[0:1] offset0:91 offset1:238
	v_fma_f32 v112, v116, v130, -v62
	v_fmac_f32_e32 v113, v117, v130
	v_fma_f32 v114, v118, v134, -v63
	v_fmac_f32_e32 v115, v119, v134
	;; [unrolled: 2-line block ×6, first 2 shown]
	ds_write2_b64 v55, v[2:3], v[4:5] offset0:1 offset1:148
	ds_write2_b64 v129, v[112:113], v[114:115] offset0:39 offset1:186
	;; [unrolled: 1-line block ×4, first 2 shown]
	ds_read_b64 v[0:1], v136 offset:14840
	s_waitcnt vmcnt(2)
	v_mul_f32_e32 v146, v121, v151
	v_mul_f32_e32 v139, v120, v151
	s_waitcnt vmcnt(1)
	v_mul_f32_e32 v147, v123, v153
	v_mul_f32_e32 v3, v122, v153
	v_fma_f32 v138, v120, v150, -v146
	v_fmac_f32_e32 v139, v121, v150
	v_fma_f32 v2, v122, v152, -v147
	v_fmac_f32_e32 v3, v123, v152
	ds_write2_b64 v43, v[138:139], v[2:3] offset0:25 offset1:172
	s_waitcnt vmcnt(0) lgkmcnt(1)
	v_mul_f32_e32 v2, v1, v155
	v_mul_f32_e32 v3, v0, v155
	v_fma_f32 v2, v0, v154, -v2
	v_fmac_f32_e32 v3, v1, v154
	ds_write_b64 v136, v[2:3] offset:14840
.LBB0_9:
	s_or_b64 exec, exec, s[0:1]
	s_waitcnt lgkmcnt(0)
	s_barrier
	ds_read2_b64 v[112:115], v136 offset1:147
	ds_read2_b64 v[128:131], v128 offset0:38 offset1:185
	ds_read2_b64 v[120:123], v126 offset0:76 offset1:223
	;; [unrolled: 1-line block ×5, first 2 shown]
	ds_read_b64 v[140:141], v136 offset:14112
	v_accvgpr_read_b32 v0, a44
	v_accvgpr_read_b32 v1, a45
	v_mov_b32_e32 v24, v1
	s_and_saveexec_b64 s[0:1], s[2:3]
	s_cbranch_execz .LBB0_11
; %bb.10:
	v_add_u32_e32 v0, 0xc00, v136
	ds_read2_b64 v[100:103], v0 offset0:1 offset1:148
	v_add_u32_e32 v0, 0x1400, v136
	ds_read2_b64 v[104:107], v0 offset0:39 offset1:186
	;; [unrolled: 2-line block ×5, first 2 shown]
	ds_read2_b64 a[34:37], v0 offset0:25 offset1:172
	ds_read_b64 a[32:33], v136 offset:14840
.LBB0_11:
	s_or_b64 exec, exec, s[0:1]
	v_mov_b32_e32 v1, v72
	v_mov_b32_e32 v0, v72
	v_accvgpr_write_b32 a75, v1
	v_accvgpr_write_b32 a74, v0
	v_mov_b32_e32 v1, v92
	v_mov_b32_e32 v0, v92
	v_accvgpr_write_b32 a95, v1
	v_accvgpr_write_b32 a94, v0
	;; [unrolled: 4-line block ×6, first 2 shown]
	s_waitcnt lgkmcnt(6)
	v_pk_add_f32 v[0:1], v[112:113], v[114:115]
	s_waitcnt lgkmcnt(0)
	v_pk_add_f32 v[4:5], v[114:115], v[140:141] neg_lo:[0,1] neg_hi:[0,1]
	v_pk_add_f32 v[0:1], v[0:1], v[128:129]
	v_pk_add_f32 v[2:3], v[140:141], v[114:115]
	;; [unrolled: 1-line block ×3, first 2 shown]
	s_mov_b32 s0, 0x3f62ad3f
	v_pk_add_f32 v[0:1], v[0:1], v[120:121]
	v_pk_mul_f32 v[6:7], v[4:5], s[42:43] op_sel_hi:[1,0]
	v_pk_add_f32 v[0:1], v[0:1], v[122:123]
	v_pk_add_f32 v[148:149], v[128:129], v[134:135] neg_lo:[0,1] neg_hi:[0,1]
	v_pk_add_f32 v[0:1], v[0:1], v[116:117]
	s_mov_b32 s22, 0xbf52af12
	v_pk_add_f32 v[0:1], v[0:1], v[118:119]
	v_pk_fma_f32 v[114:115], v[2:3], s[0:1], v[6:7] op_sel:[0,0,1] op_sel_hi:[1,0,0]
	v_pk_add_f32 v[0:1], v[0:1], v[124:125]
	v_pk_fma_f32 v[170:171], v[2:3], s[0:1], v[6:7] op_sel:[0,0,1] op_sel_hi:[1,0,0] neg_lo:[0,0,1] neg_hi:[0,0,1]
	v_pk_add_f32 v[0:1], v[0:1], v[126:127]
	v_pk_add_f32 v[138:139], v[134:135], v[128:129]
	;; [unrolled: 1-line block ×3, first 2 shown]
	s_mov_b32 s8, 0x3f116cb1
	v_pk_add_f32 v[0:1], v[0:1], v[134:135]
	v_pk_mul_f32 v[134:135], v[148:149], s[22:23] op_sel_hi:[1,0]
	v_pk_add_f32 v[152:153], v[130:131], v[132:133] neg_lo:[0,1] neg_hi:[0,1]
	s_mov_b32 s30, 0xbf7e222b
	v_mov_b32_e32 v6, v114
	v_mov_b32_e32 v7, v171
	v_pk_fma_f32 v[128:129], v[138:139], s[8:9], v[134:135] op_sel:[0,0,1] op_sel_hi:[1,0,0]
	v_pk_fma_f32 v[134:135], v[138:139], s[8:9], v[134:135] op_sel:[0,0,1] op_sel_hi:[1,0,0] neg_lo:[0,0,1] neg_hi:[0,0,1]
	v_pk_add_f32 v[150:151], v[132:133], v[130:131]
	s_mov_b32 s12, 0x3df6dbef
	v_pk_mul_f32 v[132:133], v[152:153], s[30:31] op_sel_hi:[1,0]
	v_pk_add_f32 v[156:157], v[120:121], v[126:127] neg_lo:[0,1] neg_hi:[0,1]
	s_mov_b32 s16, 0xbf6f5d39
	v_pk_add_f32 v[0:1], v[0:1], v[140:141]
	v_pk_add_f32 v[6:7], v[112:113], v[6:7]
	v_mov_b32_e32 v140, v128
	v_mov_b32_e32 v141, v135
	v_pk_fma_f32 v[130:131], v[150:151], s[12:13], v[132:133] op_sel:[0,0,1] op_sel_hi:[1,0,0]
	v_pk_fma_f32 v[132:133], v[150:151], s[12:13], v[132:133] op_sel:[0,0,1] op_sel_hi:[1,0,0] neg_lo:[0,0,1] neg_hi:[0,0,1]
	v_pk_add_f32 v[154:155], v[126:127], v[120:121]
	s_mov_b32 s14, 0xbeb58ec6
	v_pk_mul_f32 v[126:127], v[156:157], s[16:17] op_sel_hi:[1,0]
	v_pk_add_f32 v[160:161], v[122:123], v[124:125] neg_lo:[0,1] neg_hi:[0,1]
	s_mov_b32 s20, 0xbf29c268
	v_pk_add_f32 v[6:7], v[140:141], v[6:7]
	v_mov_b32_e32 v140, v130
	v_mov_b32_e32 v141, v133
	v_pk_fma_f32 v[120:121], v[154:155], s[14:15], v[126:127] op_sel:[0,0,1] op_sel_hi:[1,0,0]
	v_pk_fma_f32 v[126:127], v[154:155], s[14:15], v[126:127] op_sel:[0,0,1] op_sel_hi:[1,0,0] neg_lo:[0,0,1] neg_hi:[0,0,1]
	v_pk_add_f32 v[158:159], v[124:125], v[122:123]
	s_mov_b32 s18, 0xbf3f9e67
	v_pk_mul_f32 v[124:125], v[160:161], s[20:21] op_sel_hi:[1,0]
	v_pk_add_f32 v[164:165], v[116:117], v[118:119] neg_lo:[0,1] neg_hi:[0,1]
	s_mov_b32 s26, 0xbe750f2a
	v_pk_add_f32 v[6:7], v[140:141], v[6:7]
	v_mov_b32_e32 v140, v120
	v_mov_b32_e32 v141, v127
	v_pk_fma_f32 v[122:123], v[158:159], s[18:19], v[124:125] op_sel:[0,0,1] op_sel_hi:[1,0,0]
	v_pk_fma_f32 v[124:125], v[158:159], s[18:19], v[124:125] op_sel:[0,0,1] op_sel_hi:[1,0,0] neg_lo:[0,0,1] neg_hi:[0,0,1]
	v_pk_add_f32 v[162:163], v[118:119], v[116:117]
	s_mov_b32 s24, 0xbf788fa5
	v_pk_mul_f32 v[118:119], v[164:165], s[26:27] op_sel_hi:[1,0]
	v_pk_add_f32 v[6:7], v[140:141], v[6:7]
	v_mov_b32_e32 v140, v122
	v_mov_b32_e32 v141, v125
	v_pk_fma_f32 v[116:117], v[162:163], s[24:25], v[118:119] op_sel:[0,0,1] op_sel_hi:[1,0,0]
	v_pk_fma_f32 v[118:119], v[162:163], s[24:25], v[118:119] op_sel:[0,0,1] op_sel_hi:[1,0,0] neg_lo:[0,0,1] neg_hi:[0,0,1]
	v_pk_add_f32 v[6:7], v[140:141], v[6:7]
	v_mov_b32_e32 v140, v116
	v_mov_b32_e32 v141, v119
	v_pk_add_f32 v[6:7], v[140:141], v[6:7]
	s_barrier
	ds_write2_b64 v137, v[0:1], v[6:7] offset1:1
	v_pk_mul_f32 v[0:1], v[4:5], s[22:23] op_sel_hi:[1,0]
	v_pk_mul_f32 v[6:7], v[148:149], s[16:17] op_sel_hi:[1,0]
	v_pk_fma_f32 v[140:141], v[2:3], s[8:9], v[0:1] op_sel:[0,0,1] op_sel_hi:[1,0,0]
	v_pk_fma_f32 v[142:143], v[2:3], s[8:9], v[0:1] op_sel:[0,0,1] op_sel_hi:[1,0,0] neg_lo:[0,0,1] neg_hi:[0,0,1]
	v_mov_b32_e32 v0, v140
	v_mov_b32_e32 v1, v143
	v_pk_fma_f32 v[144:145], v[138:139], s[14:15], v[6:7] op_sel:[0,0,1] op_sel_hi:[1,0,0]
	v_pk_fma_f32 v[220:221], v[138:139], s[14:15], v[6:7] op_sel:[0,0,1] op_sel_hi:[1,0,0] neg_lo:[0,0,1] neg_hi:[0,0,1]
	v_pk_add_f32 v[0:1], v[112:113], v[0:1]
	v_mov_b32_e32 v6, v144
	v_mov_b32_e32 v7, v221
	v_pk_add_f32 v[0:1], v[6:7], v[0:1]
	v_pk_mul_f32 v[6:7], v[152:153], s[26:27] op_sel_hi:[1,0]
	s_mov_b32 s36, 0x3f29c268
	v_pk_fma_f32 v[222:223], v[150:151], s[24:25], v[6:7] op_sel:[0,0,1] op_sel_hi:[1,0,0]
	v_pk_fma_f32 v[224:225], v[150:151], s[24:25], v[6:7] op_sel:[0,0,1] op_sel_hi:[1,0,0] neg_lo:[0,0,1] neg_hi:[0,0,1]
	v_mov_b32_e32 v6, v222
	v_mov_b32_e32 v7, v225
	v_pk_add_f32 v[0:1], v[6:7], v[0:1]
	v_pk_mul_f32 v[6:7], v[156:157], s[36:37] op_sel_hi:[1,0]
	s_mov_b32 s28, 0x3f7e222b
	v_pk_fma_f32 v[226:227], v[154:155], s[18:19], v[6:7] op_sel:[0,0,1] op_sel_hi:[1,0,0]
	v_pk_fma_f32 v[228:229], v[154:155], s[18:19], v[6:7] op_sel:[0,0,1] op_sel_hi:[1,0,0] neg_lo:[0,0,1] neg_hi:[0,0,1]
	;; [unrolled: 7-line block ×3, first 2 shown]
	v_mov_b32_e32 v6, v230
	v_mov_b32_e32 v7, v233
	v_pk_add_f32 v[0:1], v[6:7], v[0:1]
	v_pk_mul_f32 v[6:7], v[164:165], s[34:35] op_sel_hi:[1,0]
	v_pk_mul_f32 v[244:245], v[148:149], s[26:27] op_sel_hi:[1,0]
	v_pk_fma_f32 v[234:235], v[162:163], s[0:1], v[6:7] op_sel:[0,0,1] op_sel_hi:[1,0,0]
	v_pk_fma_f32 v[236:237], v[162:163], s[0:1], v[6:7] op_sel:[0,0,1] op_sel_hi:[1,0,0] neg_lo:[0,0,1] neg_hi:[0,0,1]
	v_mov_b32_e32 v6, v234
	v_mov_b32_e32 v7, v237
	v_pk_add_f32 v[0:1], v[6:7], v[0:1]
	v_pk_mul_f32 v[6:7], v[4:5], s[30:31] op_sel_hi:[1,0]
	v_pk_fma_f32 v[246:247], v[138:139], s[24:25], v[244:245] op_sel:[0,0,1] op_sel_hi:[1,0,0]
	v_pk_fma_f32 v[166:167], v[2:3], s[12:13], v[6:7] op_sel:[0,0,1] op_sel_hi:[1,0,0]
	v_pk_fma_f32 v[6:7], v[2:3], s[12:13], v[6:7] op_sel:[0,0,1] op_sel_hi:[1,0,0] neg_lo:[0,0,1] neg_hi:[0,0,1]
	v_mov_b32_e32 v240, v166
	v_mov_b32_e32 v241, v7
	v_pk_fma_f32 v[244:245], v[138:139], s[24:25], v[244:245] op_sel:[0,0,1] op_sel_hi:[1,0,0] neg_lo:[0,0,1] neg_hi:[0,0,1]
	v_pk_add_f32 v[240:241], v[112:113], v[240:241]
	v_mov_b32_e32 v248, v246
	v_mov_b32_e32 v249, v245
	s_mov_b32 s44, 0x3f6f5d39
	v_pk_add_f32 v[240:241], v[248:249], v[240:241]
	v_pk_mul_f32 v[248:249], v[152:153], s[44:45] op_sel_hi:[1,0]
	v_pk_mul_f32 v[186:187], v[148:149], s[36:37] op_sel_hi:[1,0]
	v_pk_fma_f32 v[250:251], v[150:151], s[14:15], v[248:249] op_sel:[0,0,1] op_sel_hi:[1,0,0]
	v_pk_fma_f32 v[248:249], v[150:151], s[14:15], v[248:249] op_sel:[0,0,1] op_sel_hi:[1,0,0] neg_lo:[0,0,1] neg_hi:[0,0,1]
	v_mov_b32_e32 v252, v250
	v_mov_b32_e32 v253, v249
	v_pk_add_f32 v[240:241], v[252:253], v[240:241]
	v_pk_mul_f32 v[252:253], v[156:157], s[34:35] op_sel_hi:[1,0]
	v_pk_fma_f32 v[190:191], v[138:139], s[18:19], v[186:187] op_sel:[0,0,1] op_sel_hi:[1,0,0]
	v_pk_fma_f32 v[242:243], v[154:155], s[0:1], v[252:253] op_sel:[0,0,1] op_sel_hi:[1,0,0]
	v_pk_fma_f32 v[252:253], v[154:155], s[0:1], v[252:253] op_sel:[0,0,1] op_sel_hi:[1,0,0] neg_lo:[0,0,1] neg_hi:[0,0,1]
	v_mov_b32_e32 v254, v242
	v_mov_b32_e32 v255, v253
	v_pk_add_f32 v[240:241], v[254:255], v[240:241]
	v_pk_mul_f32 v[254:255], v[160:161], s[22:23] op_sel_hi:[1,0]
	v_pk_fma_f32 v[186:187], v[138:139], s[18:19], v[186:187] op_sel:[0,0,1] op_sel_hi:[1,0,0] neg_lo:[0,0,1] neg_hi:[0,0,1]
	v_pk_fma_f32 v[168:169], v[158:159], s[8:9], v[254:255] op_sel:[0,0,1] op_sel_hi:[1,0,0]
	v_pk_fma_f32 v[254:255], v[158:159], s[8:9], v[254:255] op_sel:[0,0,1] op_sel_hi:[1,0,0] neg_lo:[0,0,1] neg_hi:[0,0,1]
	v_mov_b32_e32 v146, v168
	v_mov_b32_e32 v147, v255
	v_pk_add_f32 v[146:147], v[146:147], v[240:241]
	v_pk_mul_f32 v[240:241], v[164:165], s[20:21] op_sel_hi:[1,0]
	v_mov_b32_e32 v188, v190
	v_pk_fma_f32 v[184:185], v[162:163], s[18:19], v[240:241] op_sel:[0,0,1] op_sel_hi:[1,0,0]
	v_pk_fma_f32 v[240:241], v[162:163], s[18:19], v[240:241] op_sel:[0,0,1] op_sel_hi:[1,0,0] neg_lo:[0,0,1] neg_hi:[0,0,1]
	v_mov_b32_e32 v238, v184
	v_mov_b32_e32 v239, v241
	v_pk_add_f32 v[146:147], v[238:239], v[146:147]
	ds_write2_b64 v137, v[0:1], v[146:147] offset0:2 offset1:3
	v_pk_mul_f32 v[0:1], v[4:5], s[16:17] op_sel_hi:[1,0]
	v_mov_b32_e32 v189, v187
	v_pk_fma_f32 v[146:147], v[2:3], s[14:15], v[0:1] op_sel:[0,0,1] op_sel_hi:[1,0,0]
	v_pk_fma_f32 v[0:1], v[2:3], s[14:15], v[0:1] op_sel:[0,0,1] op_sel_hi:[1,0,0] neg_lo:[0,0,1] neg_hi:[0,0,1]
	v_mov_b32_e32 v238, v146
	v_mov_b32_e32 v239, v1
	v_pk_add_f32 v[238:239], v[112:113], v[238:239]
	s_mov_b32 s40, 0x3e750f2a
	v_pk_add_f32 v[188:189], v[188:189], v[238:239]
	v_pk_mul_f32 v[238:239], v[152:153], s[34:35] op_sel_hi:[1,0]
	s_mov_b32 s38, 0x3f52af12
	v_pk_fma_f32 v[176:177], v[150:151], s[0:1], v[238:239] op_sel:[0,0,1] op_sel_hi:[1,0,0]
	v_pk_fma_f32 v[238:239], v[150:151], s[0:1], v[238:239] op_sel:[0,0,1] op_sel_hi:[1,0,0] neg_lo:[0,0,1] neg_hi:[0,0,1]
	v_mov_b32_e32 v192, v176
	v_mov_b32_e32 v193, v239
	v_pk_add_f32 v[188:189], v[192:193], v[188:189]
	v_pk_mul_f32 v[192:193], v[156:157], s[30:31] op_sel_hi:[1,0]
	v_pk_mul_f32 v[214:215], v[148:149], s[28:29] op_sel_hi:[1,0]
	v_pk_fma_f32 v[194:195], v[154:155], s[12:13], v[192:193] op_sel:[0,0,1] op_sel_hi:[1,0,0]
	v_pk_fma_f32 v[192:193], v[154:155], s[12:13], v[192:193] op_sel:[0,0,1] op_sel_hi:[1,0,0] neg_lo:[0,0,1] neg_hi:[0,0,1]
	v_mov_b32_e32 v178, v194
	v_mov_b32_e32 v179, v193
	v_pk_add_f32 v[178:179], v[178:179], v[188:189]
	v_pk_mul_f32 v[188:189], v[160:161], s[40:41] op_sel_hi:[1,0]
	v_pk_fma_f32 v[208:209], v[138:139], s[12:13], v[214:215] op_sel:[0,0,1] op_sel_hi:[1,0,0]
	v_pk_fma_f32 v[198:199], v[158:159], s[24:25], v[188:189] op_sel:[0,0,1] op_sel_hi:[1,0,0]
	v_pk_fma_f32 v[188:189], v[158:159], s[24:25], v[188:189] op_sel:[0,0,1] op_sel_hi:[1,0,0] neg_lo:[0,0,1] neg_hi:[0,0,1]
	v_mov_b32_e32 v196, v198
	v_mov_b32_e32 v197, v189
	v_pk_add_f32 v[178:179], v[196:197], v[178:179]
	v_pk_mul_f32 v[196:197], v[164:165], s[38:39] op_sel_hi:[1,0]
	v_pk_fma_f32 v[214:215], v[138:139], s[12:13], v[214:215] op_sel:[0,0,1] op_sel_hi:[1,0,0] neg_lo:[0,0,1] neg_hi:[0,0,1]
	v_pk_fma_f32 v[206:207], v[162:163], s[8:9], v[196:197] op_sel:[0,0,1] op_sel_hi:[1,0,0]
	v_pk_fma_f32 v[196:197], v[162:163], s[8:9], v[196:197] op_sel:[0,0,1] op_sel_hi:[1,0,0] neg_lo:[0,0,1] neg_hi:[0,0,1]
	v_mov_b32_e32 v202, v206
	v_mov_b32_e32 v203, v197
	v_pk_add_f32 v[178:179], v[202:203], v[178:179]
	v_pk_mul_f32 v[202:203], v[4:5], s[20:21] op_sel_hi:[1,0]
	v_mov_b32_e32 v204, v208
	v_pk_fma_f32 v[210:211], v[2:3], s[18:19], v[202:203] op_sel:[0,0,1] op_sel_hi:[1,0,0]
	v_pk_fma_f32 v[202:203], v[2:3], s[18:19], v[202:203] op_sel:[0,0,1] op_sel_hi:[1,0,0] neg_lo:[0,0,1] neg_hi:[0,0,1]
	v_mov_b32_e32 v200, v210
	v_mov_b32_e32 v201, v203
	v_pk_add_f32 v[200:201], v[112:113], v[200:201]
	v_mov_b32_e32 v205, v215
	v_pk_add_f32 v[200:201], v[204:205], v[200:201]
	v_pk_mul_f32 v[204:205], v[152:153], s[22:23] op_sel_hi:[1,0]
	v_pk_mul_f32 v[4:5], v[4:5], s[26:27] op_sel_hi:[1,0]
	v_pk_fma_f32 v[216:217], v[150:151], s[8:9], v[204:205] op_sel:[0,0,1] op_sel_hi:[1,0,0]
	v_pk_fma_f32 v[204:205], v[150:151], s[8:9], v[204:205] op_sel:[0,0,1] op_sel_hi:[1,0,0] neg_lo:[0,0,1] neg_hi:[0,0,1]
	v_mov_b32_e32 v212, v216
	v_mov_b32_e32 v213, v205
	v_pk_add_f32 v[200:201], v[212:213], v[200:201]
	v_pk_mul_f32 v[212:213], v[156:157], s[40:41] op_sel_hi:[1,0]
	v_pk_mul_f32 v[148:149], v[148:149], s[34:35] op_sel_hi:[1,0]
	v_pk_fma_f32 v[174:175], v[154:155], s[24:25], v[212:213] op_sel:[0,0,1] op_sel_hi:[1,0,0]
	v_pk_fma_f32 v[212:213], v[154:155], s[24:25], v[212:213] op_sel:[0,0,1] op_sel_hi:[1,0,0] neg_lo:[0,0,1] neg_hi:[0,0,1]
	v_mov_b32_e32 v218, v174
	v_mov_b32_e32 v219, v213
	v_pk_add_f32 v[200:201], v[218:219], v[200:201]
	v_pk_mul_f32 v[218:219], v[160:161], s[34:35] op_sel_hi:[1,0]
	v_mov_b32_e32 v203, v211
	v_pk_fma_f32 v[182:183], v[158:159], s[0:1], v[218:219] op_sel:[0,0,1] op_sel_hi:[1,0,0]
	v_pk_fma_f32 v[218:219], v[158:159], s[0:1], v[218:219] op_sel:[0,0,1] op_sel_hi:[1,0,0] neg_lo:[0,0,1] neg_hi:[0,0,1]
	v_mov_b32_e32 v180, v182
	v_mov_b32_e32 v181, v219
	v_pk_add_f32 v[180:181], v[180:181], v[200:201]
	v_pk_mul_f32 v[200:201], v[164:165], s[16:17] op_sel_hi:[1,0]
	v_mov_b32_e32 v1, v147
	v_pk_fma_f32 v[60:61], v[162:163], s[14:15], v[200:201] op_sel:[0,0,1] op_sel_hi:[1,0,0]
	v_pk_fma_f32 v[200:201], v[162:163], s[14:15], v[200:201] op_sel:[0,0,1] op_sel_hi:[1,0,0] neg_lo:[0,0,1] neg_hi:[0,0,1]
	v_mov_b32_e32 v172, v60
	v_mov_b32_e32 v173, v201
	v_pk_add_f32 v[62:63], v[172:173], v[180:181]
	ds_write2_b64 v137, v[178:179], v[62:63] offset0:4 offset1:5
	v_pk_fma_f32 v[62:63], v[2:3], s[24:25], v[4:5] op_sel:[0,0,1] op_sel_hi:[1,0,0]
	v_pk_fma_f32 v[2:3], v[2:3], s[24:25], v[4:5] op_sel:[0,0,1] op_sel_hi:[1,0,0] neg_lo:[0,0,1] neg_hi:[0,0,1]
	v_mov_b32_e32 v4, v62
	v_mov_b32_e32 v5, v3
	v_pk_fma_f32 v[172:173], v[138:139], s[0:1], v[148:149] op_sel:[0,0,1] op_sel_hi:[1,0,0]
	v_pk_fma_f32 v[138:139], v[138:139], s[0:1], v[148:149] op_sel:[0,0,1] op_sel_hi:[1,0,0] neg_lo:[0,0,1] neg_hi:[0,0,1]
	v_pk_add_f32 v[4:5], v[112:113], v[4:5]
	v_mov_b32_e32 v148, v172
	v_mov_b32_e32 v149, v139
	v_pk_add_f32 v[4:5], v[148:149], v[4:5]
	v_pk_mul_f32 v[148:149], v[152:153], s[20:21] op_sel_hi:[1,0]
	v_mov_b32_e32 v3, v63
	v_pk_fma_f32 v[152:153], v[150:151], s[18:19], v[148:149] op_sel:[0,0,1] op_sel_hi:[1,0,0]
	v_pk_fma_f32 v[148:149], v[150:151], s[18:19], v[148:149] op_sel:[0,0,1] op_sel_hi:[1,0,0] neg_lo:[0,0,1] neg_hi:[0,0,1]
	v_mov_b32_e32 v150, v152
	v_mov_b32_e32 v151, v149
	v_pk_add_f32 v[4:5], v[150:151], v[4:5]
	v_pk_mul_f32 v[150:151], v[156:157], s[38:39] op_sel_hi:[1,0]
	v_pk_add_f32 v[2:3], v[112:113], v[2:3]
	v_pk_fma_f32 v[156:157], v[154:155], s[8:9], v[150:151] op_sel:[0,0,1] op_sel_hi:[1,0,0]
	v_pk_fma_f32 v[150:151], v[154:155], s[8:9], v[150:151] op_sel:[0,0,1] op_sel_hi:[1,0,0] neg_lo:[0,0,1] neg_hi:[0,0,1]
	v_mov_b32_e32 v154, v156
	v_mov_b32_e32 v155, v151
	v_pk_add_f32 v[4:5], v[154:155], v[4:5]
	v_pk_mul_f32 v[154:155], v[160:161], s[16:17] op_sel_hi:[1,0]
	v_mov_b32_e32 v139, v173
	v_pk_fma_f32 v[160:161], v[158:159], s[14:15], v[154:155] op_sel:[0,0,1] op_sel_hi:[1,0,0]
	v_pk_fma_f32 v[154:155], v[158:159], s[14:15], v[154:155] op_sel:[0,0,1] op_sel_hi:[1,0,0] neg_lo:[0,0,1] neg_hi:[0,0,1]
	v_mov_b32_e32 v158, v160
	v_mov_b32_e32 v159, v155
	v_pk_add_f32 v[2:3], v[138:139], v[2:3]
	v_mov_b32_e32 v149, v153
	v_pk_add_f32 v[4:5], v[158:159], v[4:5]
	v_pk_mul_f32 v[158:159], v[164:165], s[28:29] op_sel_hi:[1,0]
	v_pk_add_f32 v[2:3], v[148:149], v[2:3]
	v_mov_b32_e32 v151, v157
	v_pk_fma_f32 v[164:165], v[162:163], s[12:13], v[158:159] op_sel:[0,0,1] op_sel_hi:[1,0,0]
	v_pk_fma_f32 v[158:159], v[162:163], s[12:13], v[158:159] op_sel:[0,0,1] op_sel_hi:[1,0,0] neg_lo:[0,0,1] neg_hi:[0,0,1]
	v_pk_add_f32 v[2:3], v[150:151], v[2:3]
	v_mov_b32_e32 v155, v161
	v_mov_b32_e32 v162, v164
	;; [unrolled: 1-line block ×3, first 2 shown]
	v_pk_add_f32 v[2:3], v[154:155], v[2:3]
	v_mov_b32_e32 v159, v165
	v_pk_add_f32 v[4:5], v[162:163], v[4:5]
	v_pk_add_f32 v[2:3], v[158:159], v[2:3]
	ds_write2_b64 v137, v[4:5], v[2:3] offset0:6 offset1:7
	v_pk_add_f32 v[2:3], v[112:113], v[202:203]
	v_mov_b32_e32 v215, v209
	v_pk_add_f32 v[0:1], v[112:113], v[0:1]
	v_mov_b32_e32 v187, v191
	;; [unrolled: 2-line block ×10, first 2 shown]
	v_pk_add_f32 v[2:3], v[200:201], v[2:3]
	v_pk_add_f32 v[0:1], v[196:197], v[0:1]
	v_mov_b32_e32 v7, v167
	v_mov_b32_e32 v143, v141
	ds_write2_b64 v137, v[2:3], v[0:1] offset0:8 offset1:9
	v_pk_add_f32 v[0:1], v[112:113], v[6:7]
	v_mov_b32_e32 v245, v247
	v_pk_add_f32 v[2:3], v[112:113], v[142:143]
	v_mov_b32_e32 v221, v145
	;; [unrolled: 2-line block ×10, first 2 shown]
	v_pk_add_f32 v[0:1], v[240:241], v[0:1]
	v_pk_add_f32 v[2:3], v[236:237], v[2:3]
	v_mov_b32_e32 v171, v115
	ds_write2_b64 v137, v[0:1], v[2:3] offset0:10 offset1:11
	v_pk_add_f32 v[0:1], v[112:113], v[170:171]
	v_mov_b32_e32 v135, v129
	v_pk_add_f32 v[0:1], v[134:135], v[0:1]
	v_mov_b32_e32 v133, v131
	;; [unrolled: 2-line block ×5, first 2 shown]
	v_mov_b32_e32 v72, v73
	v_accvgpr_write_b32 a72, v74
	v_accvgpr_write_b32 a73, v74
	v_mov_b32_e32 v74, v75
	v_mov_b32_e32 v92, v93
	v_accvgpr_write_b32 a92, v94
	v_accvgpr_write_b32 a93, v94
	v_mov_b32_e32 v94, v95
	;; [unrolled: 4-line block ×6, first 2 shown]
	v_pk_add_f32 v[0:1], v[118:119], v[0:1]
	ds_write_b64 v137, v[0:1] offset:96
	s_and_saveexec_b64 s[46:47], s[2:3]
	s_cbranch_execz .LBB0_13
; %bb.12:
	v_pk_add_f32 v[0:1], v[98:99], v[96:97]
	v_accvgpr_read_b32 v115, a41
	v_pk_add_f32 v[0:1], v[100:101], v[0:1]
	v_accvgpr_read_b32 v113, a39
	;; [unrolled: 2-line block ×6, first 2 shown]
	v_pk_add_f32 v[0:1], v[110:111], v[0:1]
	v_lshlrev_b32_e32 v43, 3, v2
	v_pk_add_f32 v[0:1], v[112:113], v[0:1]
	v_accvgpr_read_b32 v5, a35
	v_pk_add_f32 v[0:1], v[114:115], v[0:1]
	v_accvgpr_read_b32 v2, a32
	v_accvgpr_read_b32 v6, a36
	v_accvgpr_read_b32 v7, a37
	v_pk_add_f32 v[0:1], v[4:5], v[0:1]
	v_accvgpr_read_b32 v3, a33
	v_pk_add_f32 v[0:1], v[6:7], v[0:1]
	v_pk_add_f32 v[138:139], v[98:99], v[2:3] neg_lo:[0,1] neg_hi:[0,1]
	v_pk_add_f32 v[60:61], v[2:3], v[0:1]
	v_pk_add_f32 v[62:63], v[2:3], v[98:99]
	v_pk_mul_f32 v[2:3], v[138:139], s[42:43] op_sel_hi:[1,0]
	v_pk_add_f32 v[146:147], v[100:101], v[6:7] neg_lo:[0,1] neg_hi:[0,1]
	v_pk_fma_f32 v[0:1], v[62:63], s[0:1], v[2:3] op_sel:[0,0,1] op_sel_hi:[1,0,0]
	v_pk_fma_f32 v[2:3], v[62:63], s[0:1], v[2:3] op_sel:[0,0,1] op_sel_hi:[1,0,0] neg_lo:[0,0,1] neg_hi:[0,0,1]
	v_pk_add_f32 v[144:145], v[6:7], v[100:101]
	v_pk_add_f32 v[148:149], v[4:5], v[102:103]
	v_pk_add_f32 v[150:151], v[102:103], v[4:5] neg_lo:[0,1] neg_hi:[0,1]
	v_mov_b32_e32 v4, v0
	v_mov_b32_e32 v5, v3
	v_pk_mul_f32 v[6:7], v[146:147], s[22:23] op_sel_hi:[1,0]
	v_pk_add_f32 v[98:99], v[96:97], v[4:5]
	v_pk_fma_f32 v[4:5], v[144:145], s[8:9], v[6:7] op_sel:[0,0,1] op_sel_hi:[1,0,0]
	v_pk_fma_f32 v[6:7], v[144:145], s[8:9], v[6:7] op_sel:[0,0,1] op_sel_hi:[1,0,0] neg_lo:[0,0,1] neg_hi:[0,0,1]
	v_mov_b32_e32 v100, v4
	v_mov_b32_e32 v101, v7
	v_pk_add_f32 v[102:103], v[100:101], v[98:99]
	v_pk_mul_f32 v[100:101], v[150:151], s[30:31] op_sel_hi:[1,0]
	v_pk_add_f32 v[152:153], v[114:115], v[104:105]
	v_pk_fma_f32 v[98:99], v[148:149], s[12:13], v[100:101] op_sel:[0,0,1] op_sel_hi:[1,0,0]
	v_pk_fma_f32 v[100:101], v[148:149], s[12:13], v[100:101] op_sel:[0,0,1] op_sel_hi:[1,0,0] neg_lo:[0,0,1] neg_hi:[0,0,1]
	v_pk_add_f32 v[154:155], v[104:105], v[114:115] neg_lo:[0,1] neg_hi:[0,1]
	v_mov_b32_e32 v104, v98
	v_mov_b32_e32 v105, v101
	v_pk_add_f32 v[156:157], v[112:113], v[106:107]
	v_pk_add_f32 v[158:159], v[106:107], v[112:113] neg_lo:[0,1] neg_hi:[0,1]
	v_pk_add_f32 v[106:107], v[104:105], v[102:103]
	v_pk_mul_f32 v[104:105], v[154:155], s[16:17] op_sel_hi:[1,0]
	v_pk_add_f32 v[142:143], v[110:111], v[108:109]
	v_pk_fma_f32 v[102:103], v[152:153], s[14:15], v[104:105] op_sel:[0,0,1] op_sel_hi:[1,0,0]
	v_pk_fma_f32 v[104:105], v[152:153], s[14:15], v[104:105] op_sel:[0,0,1] op_sel_hi:[1,0,0] neg_lo:[0,0,1] neg_hi:[0,0,1]
	v_pk_add_f32 v[160:161], v[108:109], v[110:111] neg_lo:[0,1] neg_hi:[0,1]
	v_mov_b32_e32 v108, v102
	v_mov_b32_e32 v109, v105
	v_pk_add_f32 v[110:111], v[108:109], v[106:107]
	v_pk_mul_f32 v[108:109], v[158:159], s[20:21] op_sel_hi:[1,0]
	v_pk_mul_f32 v[120:121], v[146:147], s[16:17] op_sel_hi:[1,0]
	v_pk_fma_f32 v[106:107], v[156:157], s[18:19], v[108:109] op_sel:[0,0,1] op_sel_hi:[1,0,0]
	v_pk_fma_f32 v[108:109], v[156:157], s[18:19], v[108:109] op_sel:[0,0,1] op_sel_hi:[1,0,0] neg_lo:[0,0,1] neg_hi:[0,0,1]
	v_mov_b32_e32 v112, v106
	v_mov_b32_e32 v113, v109
	v_pk_add_f32 v[114:115], v[112:113], v[110:111]
	v_pk_mul_f32 v[112:113], v[160:161], s[26:27] op_sel_hi:[1,0]
	v_pk_fma_f32 v[118:119], v[144:145], s[14:15], v[120:121] op_sel:[0,0,1] op_sel_hi:[1,0,0]
	v_pk_fma_f32 v[110:111], v[142:143], s[24:25], v[112:113] op_sel:[0,0,1] op_sel_hi:[1,0,0]
	v_pk_fma_f32 v[112:113], v[142:143], s[24:25], v[112:113] op_sel:[0,0,1] op_sel_hi:[1,0,0] neg_lo:[0,0,1] neg_hi:[0,0,1]
	v_mov_b32_e32 v116, v110
	v_mov_b32_e32 v117, v113
	v_pk_add_f32 v[114:115], v[116:117], v[114:115]
	ds_write2_b64 v43, v[60:61], v[114:115] offset1:1
	v_pk_mul_f32 v[60:61], v[138:139], s[22:23] op_sel_hi:[1,0]
	v_pk_fma_f32 v[120:121], v[144:145], s[14:15], v[120:121] op_sel:[0,0,1] op_sel_hi:[1,0,0] neg_lo:[0,0,1] neg_hi:[0,0,1]
	v_pk_fma_f32 v[114:115], v[62:63], s[8:9], v[60:61] op_sel:[0,0,1] op_sel_hi:[1,0,0]
	v_pk_fma_f32 v[116:117], v[62:63], s[8:9], v[60:61] op_sel:[0,0,1] op_sel_hi:[1,0,0] neg_lo:[0,0,1] neg_hi:[0,0,1]
	v_mov_b32_e32 v60, v114
	v_mov_b32_e32 v61, v117
	v_pk_add_f32 v[60:61], v[96:97], v[60:61]
	v_mov_b32_e32 v122, v118
	v_mov_b32_e32 v123, v121
	v_pk_mul_f32 v[124:125], v[150:151], s[26:27] op_sel_hi:[1,0]
	v_pk_add_f32 v[60:61], v[122:123], v[60:61]
	v_pk_fma_f32 v[122:123], v[148:149], s[24:25], v[124:125] op_sel:[0,0,1] op_sel_hi:[1,0,0]
	v_pk_fma_f32 v[124:125], v[148:149], s[24:25], v[124:125] op_sel:[0,0,1] op_sel_hi:[1,0,0] neg_lo:[0,0,1] neg_hi:[0,0,1]
	v_mov_b32_e32 v126, v122
	v_mov_b32_e32 v127, v125
	v_pk_mul_f32 v[128:129], v[154:155], s[36:37] op_sel_hi:[1,0]
	v_pk_add_f32 v[60:61], v[126:127], v[60:61]
	v_pk_fma_f32 v[126:127], v[152:153], s[18:19], v[128:129] op_sel:[0,0,1] op_sel_hi:[1,0,0]
	v_pk_fma_f32 v[128:129], v[152:153], s[18:19], v[128:129] op_sel:[0,0,1] op_sel_hi:[1,0,0] neg_lo:[0,0,1] neg_hi:[0,0,1]
	;; [unrolled: 6-line block ×4, first 2 shown]
	v_mov_b32_e32 v162, v134
	v_mov_b32_e32 v163, v141
	v_pk_add_f32 v[60:61], v[162:163], v[60:61]
	v_pk_mul_f32 v[162:163], v[138:139], s[30:31] op_sel_hi:[1,0]
	v_pk_mul_f32 v[168:169], v[146:147], s[26:27] op_sel_hi:[1,0]
	v_pk_fma_f32 v[164:165], v[62:63], s[12:13], v[162:163] op_sel:[0,0,1] op_sel_hi:[1,0,0]
	v_pk_fma_f32 v[162:163], v[62:63], s[12:13], v[162:163] op_sel:[0,0,1] op_sel_hi:[1,0,0] neg_lo:[0,0,1] neg_hi:[0,0,1]
	v_mov_b32_e32 v166, v164
	v_mov_b32_e32 v167, v163
	v_pk_fma_f32 v[170:171], v[144:145], s[24:25], v[168:169] op_sel:[0,0,1] op_sel_hi:[1,0,0]
	v_pk_fma_f32 v[168:169], v[144:145], s[24:25], v[168:169] op_sel:[0,0,1] op_sel_hi:[1,0,0] neg_lo:[0,0,1] neg_hi:[0,0,1]
	v_pk_add_f32 v[166:167], v[96:97], v[166:167]
	v_mov_b32_e32 v172, v170
	v_mov_b32_e32 v173, v169
	v_pk_add_f32 v[166:167], v[172:173], v[166:167]
	v_pk_mul_f32 v[172:173], v[150:151], s[44:45] op_sel_hi:[1,0]
	v_pk_mul_f32 v[190:191], v[146:147], s[36:37] op_sel_hi:[1,0]
	v_pk_fma_f32 v[174:175], v[148:149], s[14:15], v[172:173] op_sel:[0,0,1] op_sel_hi:[1,0,0]
	v_pk_fma_f32 v[172:173], v[148:149], s[14:15], v[172:173] op_sel:[0,0,1] op_sel_hi:[1,0,0] neg_lo:[0,0,1] neg_hi:[0,0,1]
	v_mov_b32_e32 v176, v174
	v_mov_b32_e32 v177, v173
	v_pk_add_f32 v[166:167], v[176:177], v[166:167]
	v_pk_mul_f32 v[176:177], v[154:155], s[34:35] op_sel_hi:[1,0]
	v_pk_fma_f32 v[192:193], v[144:145], s[18:19], v[190:191] op_sel:[0,0,1] op_sel_hi:[1,0,0]
	v_pk_fma_f32 v[178:179], v[152:153], s[0:1], v[176:177] op_sel:[0,0,1] op_sel_hi:[1,0,0]
	v_pk_fma_f32 v[176:177], v[152:153], s[0:1], v[176:177] op_sel:[0,0,1] op_sel_hi:[1,0,0] neg_lo:[0,0,1] neg_hi:[0,0,1]
	v_mov_b32_e32 v180, v178
	v_mov_b32_e32 v181, v177
	v_pk_add_f32 v[166:167], v[180:181], v[166:167]
	v_pk_mul_f32 v[180:181], v[158:159], s[22:23] op_sel_hi:[1,0]
	v_pk_fma_f32 v[190:191], v[144:145], s[18:19], v[190:191] op_sel:[0,0,1] op_sel_hi:[1,0,0] neg_lo:[0,0,1] neg_hi:[0,0,1]
	v_pk_fma_f32 v[182:183], v[156:157], s[8:9], v[180:181] op_sel:[0,0,1] op_sel_hi:[1,0,0]
	v_pk_fma_f32 v[180:181], v[156:157], s[8:9], v[180:181] op_sel:[0,0,1] op_sel_hi:[1,0,0] neg_lo:[0,0,1] neg_hi:[0,0,1]
	v_mov_b32_e32 v184, v182
	v_mov_b32_e32 v185, v181
	v_pk_add_f32 v[166:167], v[184:185], v[166:167]
	v_pk_mul_f32 v[184:185], v[160:161], s[20:21] op_sel_hi:[1,0]
	v_mov_b32_e32 v194, v192
	v_pk_fma_f32 v[186:187], v[142:143], s[18:19], v[184:185] op_sel:[0,0,1] op_sel_hi:[1,0,0]
	v_pk_fma_f32 v[184:185], v[142:143], s[18:19], v[184:185] op_sel:[0,0,1] op_sel_hi:[1,0,0] neg_lo:[0,0,1] neg_hi:[0,0,1]
	v_mov_b32_e32 v188, v186
	v_mov_b32_e32 v189, v185
	v_pk_add_f32 v[166:167], v[188:189], v[166:167]
	ds_write2_b64 v43, v[60:61], v[166:167] offset0:2 offset1:3
	v_pk_mul_f32 v[60:61], v[138:139], s[16:17] op_sel_hi:[1,0]
	v_mov_b32_e32 v195, v191
	v_pk_fma_f32 v[166:167], v[62:63], s[14:15], v[60:61] op_sel:[0,0,1] op_sel_hi:[1,0,0]
	v_pk_fma_f32 v[60:61], v[62:63], s[14:15], v[60:61] op_sel:[0,0,1] op_sel_hi:[1,0,0] neg_lo:[0,0,1] neg_hi:[0,0,1]
	v_mov_b32_e32 v188, v166
	v_mov_b32_e32 v189, v61
	v_pk_add_f32 v[188:189], v[96:97], v[188:189]
	v_pk_mul_f32 v[216:217], v[146:147], s[28:29] op_sel_hi:[1,0]
	v_pk_add_f32 v[188:189], v[194:195], v[188:189]
	v_pk_mul_f32 v[194:195], v[150:151], s[34:35] op_sel_hi:[1,0]
	v_pk_fma_f32 v[218:219], v[144:145], s[12:13], v[216:217] op_sel:[0,0,1] op_sel_hi:[1,0,0]
	v_pk_fma_f32 v[196:197], v[148:149], s[0:1], v[194:195] op_sel:[0,0,1] op_sel_hi:[1,0,0]
	v_pk_fma_f32 v[194:195], v[148:149], s[0:1], v[194:195] op_sel:[0,0,1] op_sel_hi:[1,0,0] neg_lo:[0,0,1] neg_hi:[0,0,1]
	v_mov_b32_e32 v198, v196
	v_mov_b32_e32 v199, v195
	v_pk_add_f32 v[188:189], v[198:199], v[188:189]
	v_pk_mul_f32 v[198:199], v[154:155], s[30:31] op_sel_hi:[1,0]
	v_pk_fma_f32 v[216:217], v[144:145], s[12:13], v[216:217] op_sel:[0,0,1] op_sel_hi:[1,0,0] neg_lo:[0,0,1] neg_hi:[0,0,1]
	v_pk_fma_f32 v[200:201], v[152:153], s[12:13], v[198:199] op_sel:[0,0,1] op_sel_hi:[1,0,0]
	v_pk_fma_f32 v[198:199], v[152:153], s[12:13], v[198:199] op_sel:[0,0,1] op_sel_hi:[1,0,0] neg_lo:[0,0,1] neg_hi:[0,0,1]
	v_mov_b32_e32 v202, v200
	v_mov_b32_e32 v203, v199
	v_pk_add_f32 v[188:189], v[202:203], v[188:189]
	v_pk_mul_f32 v[202:203], v[158:159], s[40:41] op_sel_hi:[1,0]
	v_mov_b32_e32 v220, v218
	v_pk_fma_f32 v[204:205], v[156:157], s[24:25], v[202:203] op_sel:[0,0,1] op_sel_hi:[1,0,0]
	v_pk_fma_f32 v[202:203], v[156:157], s[24:25], v[202:203] op_sel:[0,0,1] op_sel_hi:[1,0,0] neg_lo:[0,0,1] neg_hi:[0,0,1]
	v_mov_b32_e32 v206, v204
	v_mov_b32_e32 v207, v203
	v_pk_add_f32 v[188:189], v[206:207], v[188:189]
	v_pk_mul_f32 v[206:207], v[160:161], s[38:39] op_sel_hi:[1,0]
	v_mov_b32_e32 v221, v217
	v_pk_fma_f32 v[208:209], v[142:143], s[8:9], v[206:207] op_sel:[0,0,1] op_sel_hi:[1,0,0]
	v_pk_fma_f32 v[206:207], v[142:143], s[8:9], v[206:207] op_sel:[0,0,1] op_sel_hi:[1,0,0] neg_lo:[0,0,1] neg_hi:[0,0,1]
	v_mov_b32_e32 v210, v208
	v_mov_b32_e32 v211, v207
	v_pk_add_f32 v[188:189], v[210:211], v[188:189]
	v_pk_mul_f32 v[210:211], v[138:139], s[20:21] op_sel_hi:[1,0]
	v_pk_mul_f32 v[138:139], v[138:139], s[26:27] op_sel_hi:[1,0]
	v_pk_fma_f32 v[212:213], v[62:63], s[18:19], v[210:211] op_sel:[0,0,1] op_sel_hi:[1,0,0]
	v_pk_fma_f32 v[210:211], v[62:63], s[18:19], v[210:211] op_sel:[0,0,1] op_sel_hi:[1,0,0] neg_lo:[0,0,1] neg_hi:[0,0,1]
	v_mov_b32_e32 v214, v212
	v_mov_b32_e32 v215, v211
	v_pk_add_f32 v[214:215], v[96:97], v[214:215]
	v_pk_mul_f32 v[146:147], v[146:147], s[34:35] op_sel_hi:[1,0]
	v_pk_add_f32 v[214:215], v[220:221], v[214:215]
	v_pk_mul_f32 v[220:221], v[150:151], s[22:23] op_sel_hi:[1,0]
	v_mov_b32_e32 v211, v213
	v_pk_fma_f32 v[222:223], v[148:149], s[8:9], v[220:221] op_sel:[0,0,1] op_sel_hi:[1,0,0]
	v_pk_fma_f32 v[220:221], v[148:149], s[8:9], v[220:221] op_sel:[0,0,1] op_sel_hi:[1,0,0] neg_lo:[0,0,1] neg_hi:[0,0,1]
	v_mov_b32_e32 v224, v222
	v_mov_b32_e32 v225, v221
	v_pk_add_f32 v[214:215], v[224:225], v[214:215]
	v_pk_mul_f32 v[224:225], v[154:155], s[40:41] op_sel_hi:[1,0]
	v_mov_b32_e32 v61, v167
	v_pk_fma_f32 v[226:227], v[152:153], s[24:25], v[224:225] op_sel:[0,0,1] op_sel_hi:[1,0,0]
	v_pk_fma_f32 v[224:225], v[152:153], s[24:25], v[224:225] op_sel:[0,0,1] op_sel_hi:[1,0,0] neg_lo:[0,0,1] neg_hi:[0,0,1]
	v_mov_b32_e32 v228, v226
	v_mov_b32_e32 v229, v225
	;; [unrolled: 7-line block ×3, first 2 shown]
	v_pk_add_f32 v[214:215], v[232:233], v[214:215]
	v_pk_mul_f32 v[232:233], v[160:161], s[16:17] op_sel_hi:[1,0]
	v_pk_add_f32 v[60:61], v[96:97], v[60:61]
	v_pk_fma_f32 v[234:235], v[142:143], s[14:15], v[232:233] op_sel:[0,0,1] op_sel_hi:[1,0,0]
	v_pk_fma_f32 v[232:233], v[142:143], s[14:15], v[232:233] op_sel:[0,0,1] op_sel_hi:[1,0,0] neg_lo:[0,0,1] neg_hi:[0,0,1]
	v_mov_b32_e32 v236, v234
	v_mov_b32_e32 v237, v233
	v_pk_add_f32 v[214:215], v[236:237], v[214:215]
	ds_write2_b64 v43, v[188:189], v[214:215] offset0:4 offset1:5
	v_pk_fma_f32 v[188:189], v[62:63], s[24:25], v[138:139] op_sel:[0,0,1] op_sel_hi:[1,0,0]
	v_pk_fma_f32 v[62:63], v[62:63], s[24:25], v[138:139] op_sel:[0,0,1] op_sel_hi:[1,0,0] neg_lo:[0,0,1] neg_hi:[0,0,1]
	v_mov_b32_e32 v138, v188
	v_mov_b32_e32 v139, v63
	v_pk_fma_f32 v[214:215], v[144:145], s[0:1], v[146:147] op_sel:[0,0,1] op_sel_hi:[1,0,0]
	v_pk_fma_f32 v[144:145], v[144:145], s[0:1], v[146:147] op_sel:[0,0,1] op_sel_hi:[1,0,0] neg_lo:[0,0,1] neg_hi:[0,0,1]
	v_pk_add_f32 v[138:139], v[96:97], v[138:139]
	v_mov_b32_e32 v146, v214
	v_mov_b32_e32 v147, v145
	v_pk_add_f32 v[138:139], v[146:147], v[138:139]
	v_pk_mul_f32 v[146:147], v[150:151], s[20:21] op_sel_hi:[1,0]
	v_mov_b32_e32 v63, v189
	v_pk_fma_f32 v[150:151], v[148:149], s[18:19], v[146:147] op_sel:[0,0,1] op_sel_hi:[1,0,0]
	v_pk_fma_f32 v[146:147], v[148:149], s[18:19], v[146:147] op_sel:[0,0,1] op_sel_hi:[1,0,0] neg_lo:[0,0,1] neg_hi:[0,0,1]
	v_mov_b32_e32 v148, v150
	v_mov_b32_e32 v149, v147
	v_pk_add_f32 v[138:139], v[148:149], v[138:139]
	v_pk_mul_f32 v[148:149], v[154:155], s[38:39] op_sel_hi:[1,0]
	v_pk_add_f32 v[62:63], v[96:97], v[62:63]
	v_pk_fma_f32 v[154:155], v[152:153], s[8:9], v[148:149] op_sel:[0,0,1] op_sel_hi:[1,0,0]
	v_pk_fma_f32 v[148:149], v[152:153], s[8:9], v[148:149] op_sel:[0,0,1] op_sel_hi:[1,0,0] neg_lo:[0,0,1] neg_hi:[0,0,1]
	v_mov_b32_e32 v152, v154
	v_mov_b32_e32 v153, v149
	v_pk_add_f32 v[138:139], v[152:153], v[138:139]
	v_pk_mul_f32 v[152:153], v[158:159], s[16:17] op_sel_hi:[1,0]
	v_mov_b32_e32 v145, v215
	v_pk_fma_f32 v[158:159], v[156:157], s[14:15], v[152:153] op_sel:[0,0,1] op_sel_hi:[1,0,0]
	v_pk_fma_f32 v[152:153], v[156:157], s[14:15], v[152:153] op_sel:[0,0,1] op_sel_hi:[1,0,0] neg_lo:[0,0,1] neg_hi:[0,0,1]
	v_mov_b32_e32 v156, v158
	v_mov_b32_e32 v157, v153
	v_pk_add_f32 v[62:63], v[144:145], v[62:63]
	v_mov_b32_e32 v147, v151
	v_pk_add_f32 v[138:139], v[156:157], v[138:139]
	v_pk_mul_f32 v[156:157], v[160:161], s[28:29] op_sel_hi:[1,0]
	v_pk_add_f32 v[62:63], v[146:147], v[62:63]
	v_mov_b32_e32 v149, v155
	v_pk_fma_f32 v[160:161], v[142:143], s[12:13], v[156:157] op_sel:[0,0,1] op_sel_hi:[1,0,0]
	v_pk_fma_f32 v[142:143], v[142:143], s[12:13], v[156:157] op_sel:[0,0,1] op_sel_hi:[1,0,0] neg_lo:[0,0,1] neg_hi:[0,0,1]
	v_pk_add_f32 v[62:63], v[148:149], v[62:63]
	v_mov_b32_e32 v153, v159
	v_mov_b32_e32 v156, v160
	;; [unrolled: 1-line block ×3, first 2 shown]
	v_pk_add_f32 v[62:63], v[152:153], v[62:63]
	v_mov_b32_e32 v143, v161
	v_pk_add_f32 v[138:139], v[156:157], v[138:139]
	v_pk_add_f32 v[62:63], v[142:143], v[62:63]
	ds_write2_b64 v43, v[138:139], v[62:63] offset0:6 offset1:7
	v_pk_add_f32 v[62:63], v[96:97], v[210:211]
	v_mov_b32_e32 v191, v193
	v_pk_add_f32 v[62:63], v[216:217], v[62:63]
	v_mov_b32_e32 v221, v223
	;; [unrolled: 2-line block ×9, first 2 shown]
	v_pk_add_f32 v[62:63], v[232:233], v[62:63]
	v_pk_add_f32 v[60:61], v[206:207], v[60:61]
	v_mov_b32_e32 v163, v165
	v_mov_b32_e32 v117, v115
	;; [unrolled: 1-line block ×3, first 2 shown]
	ds_write2_b64 v43, v[62:63], v[60:61] offset0:8 offset1:9
	v_pk_add_f32 v[60:61], v[96:97], v[162:163]
	v_mov_b32_e32 v169, v171
	v_pk_add_f32 v[62:63], v[96:97], v[116:117]
	v_mov_b32_e32 v121, v119
	;; [unrolled: 2-line block ×15, first 2 shown]
	v_pk_add_f32 v[60:61], v[184:185], v[60:61]
	v_pk_add_f32 v[62:63], v[140:141], v[62:63]
	;; [unrolled: 1-line block ×3, first 2 shown]
	ds_write2_b64 v43, v[60:61], v[62:63] offset0:10 offset1:11
	ds_write_b64 v43, v[0:1] offset:96
.LBB0_13:
	s_or_b64 exec, exec, s[46:47]
	v_add_u32_e32 v124, 0x1400, v136
	v_accvgpr_read_b32 v160, a30
	s_waitcnt lgkmcnt(0)
	s_barrier
	ds_read2_b64 v[118:121], v124 offset0:88 offset1:179
	v_mad_u64_u32 v[106:107], s[0:1], s6, v160, 0
	v_mov_b32_e32 v108, v107
	v_add_u32_e32 v107, 0x2000, v136
	ds_read2_b64 v[224:227], v107 offset0:68 offset1:159
	v_mov_b32_e32 v60, v45
	v_add_u32_e32 v130, 0x1800, v136
	s_waitcnt lgkmcnt(1)
	v_pk_mul_f32 v[144:145], v[60:61], v[120:121] op_sel:[0,1] op_sel_hi:[1,0]
	v_pk_mul_f32 v[60:61], v[44:45], v[120:121] op_sel:[0,1] op_sel_hi:[1,0]
	ds_read2_b64 v[220:223], v130 offset0:142 offset1:233
	v_mov_b32_e32 v60, v61
	v_pk_mul_f32 v[138:139], v[44:45], v[120:121]
	v_pk_fma_f32 v[146:147], v[44:45], v[120:121], v[60:61] op_sel:[0,1,0] op_sel_hi:[1,0,1] neg_lo:[0,0,1] neg_hi:[0,0,1]
	v_mov_b32_e32 v44, v47
	s_waitcnt lgkmcnt(1)
	v_pk_mul_f32 v[150:151], v[44:45], v[224:225] op_sel:[0,1] op_sel_hi:[1,0]
	v_pk_mul_f32 v[44:45], v[46:47], v[224:225] op_sel:[0,1] op_sel_hi:[1,0]
	v_add_u32_e32 v125, 0x2c00, v136
	v_mov_b32_e32 v44, v45
	v_add_u32_e32 v128, 0x800, v136
	ds_read2_b64 v[100:103], v125 offset0:48 offset1:139
	v_pk_fma_f32 v[152:153], v[46:47], v[224:225], v[44:45] op_sel:[0,1,0] op_sel_hi:[1,0,1] neg_lo:[0,0,1] neg_hi:[0,0,1]
	v_mov_b32_e32 v44, v57
	ds_read2_b64 v[96:99], v128 offset0:108 offset1:199
	s_waitcnt lgkmcnt(2)
	v_pk_mul_f32 v[112:113], v[44:45], v[220:221] op_sel:[0,1] op_sel_hi:[1,0]
	v_pk_mul_f32 v[44:45], v[56:57], v[220:221] op_sel:[0,1] op_sel_hi:[1,0]
	ds_read_b64 v[120:121], v136 offset:14560
	v_mov_b32_e32 v44, v45
	v_accvgpr_read_b32 v157, a51
	v_pk_mul_f32 v[148:149], v[46:47], v[224:225]
	v_pk_fma_f32 v[46:47], v[56:57], v[220:221], v[44:45] op_sel:[0,1,0] op_sel_hi:[1,0,1] neg_lo:[0,0,1] neg_hi:[0,0,1]
	v_mov_b32_e32 v44, v59
	v_accvgpr_read_b32 v156, a50
	v_pk_mul_f32 v[116:117], v[44:45], v[226:227] op_sel:[0,1] op_sel_hi:[1,0]
	v_pk_mul_f32 v[44:45], v[58:59], v[226:227] op_sel:[0,1] op_sel_hi:[1,0]
	v_pk_mul_f32 v[60:61], v[156:157], v[118:119]
	v_mov_b32_e32 v44, v45
	v_accvgpr_read_b32 v155, a49
	v_accvgpr_read_b32 v154, a48
	s_waitcnt lgkmcnt(2)
	v_mul_f32_e32 v63, v36, v102
	v_mul_f32_e32 v37, v37, v103
	v_mov_b32_e32 v62, v60
	v_mov_b32_e32 v36, v61
	v_pk_mul_f32 v[110:111], v[56:57], v[220:221]
	v_pk_fma_f32 v[56:57], v[58:59], v[226:227], v[44:45] op_sel:[0,1,0] op_sel_hi:[1,0,1] neg_lo:[0,0,1] neg_hi:[0,0,1]
	s_waitcnt lgkmcnt(1)
	v_pk_mul_f32 v[44:45], v[154:155], v[98:99] op_sel:[0,1] op_sel_hi:[1,0]
	v_pk_add_f32 v[60:61], v[62:63], v[36:37]
	s_waitcnt lgkmcnt(0)
	v_pk_mul_f32 v[36:37], v[38:39], v[120:121] op_sel:[0,1] op_sel_hi:[1,0]
	v_mov_b32_e32 v122, v44
	v_mov_b32_e32 v123, v36
	;; [unrolled: 1-line block ×3, first 2 shown]
	v_pk_add_f32 v[122:123], v[122:123], v[36:37] neg_lo:[0,1] neg_hi:[0,1]
	v_add_u32_e32 v126, 0x2400, v136
	v_mov_b32_e32 v37, v122
	ds_read2_b64 v[140:143], v126 offset0:122 offset1:213
	v_pk_add_f32 v[36:37], v[36:37], v[122:123]
	v_accvgpr_read_b32 v159, a61
	v_mov_b32_e32 v36, v61
	v_accvgpr_read_b32 v163, a59
	v_mov_b32_e32 v157, v119
	v_mov_b32_e32 v119, v118
	;; [unrolled: 1-line block ×3, first 2 shown]
	v_accvgpr_read_b32 v158, a60
	v_pk_add_f32 v[44:45], v[60:61], v[36:37]
	v_mov_b32_e32 v36, v163
	v_mov_b32_e32 v155, v156
	;; [unrolled: 1-line block ×4, first 2 shown]
	v_pk_mul_f32 v[118:119], v[158:159], v[118:119]
	v_pk_mul_f32 v[114:115], v[58:59], v[226:227]
	v_mov_b32_e32 v58, v99
	v_pk_fma_f32 v[158:159], v[36:37], v[156:157], v[118:119]
	v_pk_fma_f32 v[118:119], v[154:155], v[156:157], v[118:119] neg_lo:[0,0,1] neg_hi:[0,0,1]
	v_mov_b32_e32 v59, v222
	v_accvgpr_read_b32 v157, a53
	v_accvgpr_read_b32 v162, a58
	v_mov_b32_e32 v99, v223
	v_pk_mul_f32 v[40:41], v[40:41], v[58:59]
	v_accvgpr_read_b32 v156, a52
	v_mov_b32_e32 v62, v121
	v_pk_fma_f32 v[58:59], v[162:163], v[98:99], v[40:41]
	v_pk_fma_f32 v[98:99], v[162:163], v[98:99], v[40:41] neg_lo:[0,0,1] neg_hi:[0,0,1]
	v_mov_b32_e32 v41, v103
	v_mov_b32_e32 v155, v102
	v_accvgpr_read_b32 v103, a63
	v_mov_b32_e32 v39, v42
	v_accvgpr_read_b32 v42, a96
	v_mov_b32_e32 v43, v156
	s_waitcnt lgkmcnt(0)
	v_mov_b32_e32 v63, v140
	v_mov_b32_e32 v154, v140
	v_accvgpr_read_b32 v102, a62
	v_mov_b32_e32 v121, v141
	v_pk_mul_f32 v[42:43], v[42:43], v[62:63]
	v_mov_b32_e32 v40, v141
	v_pk_mul_f32 v[102:103], v[102:103], v[154:155]
	v_pk_fma_f32 v[62:63], v[38:39], v[120:121], v[42:43]
	v_add_u32_e32 v129, 0x400, v136
	v_pk_fma_f32 v[154:155], v[156:157], v[40:41], v[102:103]
	v_pk_fma_f32 v[40:41], v[156:157], v[40:41], v[102:103] neg_lo:[0,0,1] neg_hi:[0,0,1]
	v_pk_fma_f32 v[42:43], v[38:39], v[120:121], v[42:43] neg_lo:[0,0,1] neg_hi:[0,0,1]
	v_mov_b32_e32 v38, v122
	v_mov_b32_e32 v39, v58
	;; [unrolled: 1-line block ×4, first 2 shown]
	ds_read2_b64 v[132:135], v129 offset0:54 offset1:145
	v_mov_b32_e32 v159, v119
	v_mov_b32_e32 v59, v99
	;; [unrolled: 1-line block ×4, first 2 shown]
	v_pk_add_f32 v[38:39], v[38:39], v[102:103] neg_lo:[0,1] neg_hi:[0,1]
	v_mov_b32_e32 v102, v119
	v_mov_b32_e32 v103, v60
	;; [unrolled: 1-line block ×3, first 2 shown]
	v_pk_add_f32 v[40:41], v[102:103], v[60:61] neg_lo:[0,1] neg_hi:[0,1]
	v_pk_add_f32 v[60:61], v[158:159], v[154:155]
	v_pk_add_f32 v[58:59], v[58:59], v[62:63]
	v_mov_b32_e32 v42, v43
	v_mov_b32_e32 v43, v154
	;; [unrolled: 1-line block ×4, first 2 shown]
	v_pk_add_f32 v[42:43], v[42:43], v[62:63] neg_lo:[0,1] neg_hi:[0,1]
	v_mov_b32_e32 v45, v61
	v_mov_b32_e32 v36, v58
	s_mov_b32 s12, 0xbeae86e6
	v_add_u32_e32 v127, 0x1000, v136
	v_pk_add_f32 v[62:63], v[44:45], v[36:37]
	v_mov_b32_e32 v98, v60
	v_mov_b32_e32 v99, v37
	;; [unrolled: 1-line block ×4, first 2 shown]
	v_pk_add_f32 v[140:141], v[58:59], v[60:61] neg_lo:[0,1] neg_hi:[0,1]
	v_mov_b32_e32 v118, v42
	v_mov_b32_e32 v119, v39
	;; [unrolled: 1-line block ×5, first 2 shown]
	s_mov_b32 s8, 0x3d64c772
	s_mov_b32 s13, 0x3f08b237
	ds_read2_b64 v[4:7], v127 offset0:34 offset1:125
	v_pk_add_f32 v[98:99], v[98:99], v[102:103] neg_lo:[0,1] neg_hi:[0,1]
	v_pk_add_f32 v[102:103], v[42:43], v[40:41]
	v_pk_add_f32 v[120:121], v[118:119], v[120:121] neg_lo:[0,1] neg_hi:[0,1]
	v_mov_b32_e32 v118, v38
	v_mov_b32_e32 v119, v43
	;; [unrolled: 1-line block ×3, first 2 shown]
	v_pk_add_f32 v[60:61], v[60:61], v[62:63]
	s_mov_b32 s9, 0x3f4a47b2
	s_mov_b32 s14, s13
	s_mov_b32 s15, s12
	v_mov_b32_e32 v104, s10
	v_mov_b32_e32 v105, s11
	v_pk_add_f32 v[154:155], v[118:119], v[42:43] neg_lo:[0,1] neg_hi:[0,1]
	v_pk_add_f32 v[42:43], v[102:103], v[38:39]
	s_waitcnt lgkmcnt(1)
	v_pk_add_f32 v[102:103], v[132:133], v[60:61]
	s_mov_b32 s6, 0x3f955555
	v_pk_mul_f32 v[58:59], v[98:99], s[8:9]
	s_mov_b32 s10, s9
	s_mov_b32 s11, s8
	v_pk_mul_f32 v[122:123], v[120:121], s[14:15]
	s_mov_b32 s0, 0xbee1c552
	v_pk_fma_f32 v[120:121], v[60:61], s[6:7], v[102:103] op_sel_hi:[1,0,1] neg_lo:[1,0,0] neg_hi:[1,0,0]
	v_pk_fma_f32 v[60:61], v[140:141], s[10:11], v[58:59]
	v_pk_fma_f32 v[98:99], v[154:155], s[12:13], v[122:123]
	v_add_u32_e32 v109, 0x3000, v136
	v_pk_add_f32 v[132:133], v[60:61], v[120:121]
	v_pk_fma_f32 v[98:99], v[42:43], s[0:1], v[98:99] op_sel_hi:[1,0,1]
	ds_read2_b64 v[0:3], v109 offset0:102 offset1:193
	v_pk_mul_f32 v[62:63], v[140:141], s[10:11]
	v_pk_add_f32 v[60:61], v[132:133], v[98:99] neg_lo:[0,1] neg_hi:[0,1]
	v_pk_add_f32 v[98:99], v[132:133], v[98:99]
	v_mov_b32_e32 v132, v135
	v_pk_mul_f32 v[140:141], v[16:17], v[134:135] op_sel_hi:[1,0]
	ds_read2_b64 v[182:185], v136 offset1:91
	v_pk_fma_f32 v[132:133], v[16:17], v[132:133], v[140:141] op_sel:[0,0,1] op_sel_hi:[1,1,0] neg_lo:[0,0,1] neg_hi:[0,0,1]
	v_pk_fma_f32 v[16:17], v[16:17], v[134:135], v[140:141] op_sel:[0,1,1] op_sel_hi:[1,1,0]
	s_waitcnt lgkmcnt(2)
	v_pk_mul_f32 v[134:135], v[18:19], v[4:5] op_sel_hi:[1,0]
	v_mov_b32_e32 v16, v5
	v_pk_fma_f32 v[4:5], v[18:19], v[4:5], v[134:135] op_sel:[0,1,1] op_sel_hi:[1,1,0]
	v_mov_b32_e32 v133, v17
	v_pk_fma_f32 v[16:17], v[18:19], v[16:17], v[134:135] op_sel:[0,0,1] op_sel_hi:[1,1,0] neg_lo:[0,0,1] neg_hi:[0,0,1]
	v_mov_b32_e32 v4, v143
	v_pk_mul_f32 v[18:19], v[20:21], v[142:143] op_sel_hi:[1,0]
	v_mov_b32_e32 v17, v5
	v_pk_fma_f32 v[4:5], v[20:21], v[4:5], v[18:19] op_sel:[0,0,1] op_sel_hi:[1,1,0] neg_lo:[0,0,1] neg_hi:[0,0,1]
	v_pk_fma_f32 v[18:19], v[20:21], v[142:143], v[18:19] op_sel:[0,1,1] op_sel_hi:[1,1,0]
	s_waitcnt lgkmcnt(1)
	v_pk_mul_f32 v[20:21], v[22:23], v[0:1] op_sel_hi:[1,0]
	v_mov_b32_e32 v18, v1
	v_mov_b32_e32 v5, v19
	v_pk_fma_f32 v[18:19], v[22:23], v[18:19], v[20:21] op_sel:[0,0,1] op_sel_hi:[1,1,0] neg_lo:[0,0,1] neg_hi:[0,0,1]
	v_pk_fma_f32 v[0:1], v[22:23], v[0:1], v[20:21] op_sel:[0,1,1] op_sel_hi:[1,1,0]
	v_mov_b32_e32 v149, v132
	v_mov_b32_e32 v19, v1
	;; [unrolled: 1-line block ×5, first 2 shown]
	v_pk_add_f32 v[0:1], v[132:133], v[18:19]
	v_pk_add_f32 v[20:21], v[132:133], v[18:19] neg_lo:[0,1] neg_hi:[0,1]
	v_pk_add_f32 v[22:23], v[16:17], v[4:5]
	v_pk_add_f32 v[134:135], v[16:17], v[4:5] neg_lo:[0,1] neg_hi:[0,1]
	v_pk_add_f32 v[18:19], v[148:149], v[150:151]
	v_pk_add_f32 v[4:5], v[138:139], v[144:145]
	v_mov_b32_e32 v153, v18
	v_mov_b32_e32 v147, v4
	v_pk_add_f32 v[16:17], v[152:153], v[146:147] neg_lo:[0,1] neg_hi:[0,1]
	v_mov_b32_e32 v142, v23
	v_mov_b32_e32 v143, v146
	;; [unrolled: 1-line block ×8, first 2 shown]
	v_pk_add_f32 v[142:143], v[142:143], v[144:145]
	v_pk_add_f32 v[144:145], v[4:5], v[18:19]
	v_pk_add_f32 v[132:133], v[132:133], v[138:139] neg_lo:[0,1] neg_hi:[0,1]
	v_mov_b32_e32 v138, v20
	v_mov_b32_e32 v140, v16
	v_mov_b32_e32 v141, v135
	v_mov_b32_e32 v18, v144
	v_mov_b32_e32 v146, v23
	v_mov_b32_e32 v147, v143
	v_mov_b32_e32 v148, v1
	v_mov_b32_e32 v149, v143
	v_mov_b32_e32 v4, v144
	v_pk_add_f32 v[138:139], v[138:139], v[140:141] neg_lo:[0,1] neg_hi:[0,1]
	v_pk_add_f32 v[146:147], v[18:19], v[146:147] neg_lo:[0,1] neg_hi:[0,1]
	;; [unrolled: 1-line block ×3, first 2 shown]
	v_pk_mul_f32 v[132:133], v[132:133], s[14:15]
	v_pk_mul_f32 v[140:141], v[138:139], s[12:13]
	v_pk_add_f32 v[16:17], v[16:17], v[134:135]
	v_pk_add_f32 v[142:143], v[142:143], v[144:145]
	v_pk_mul_f32 v[146:147], v[146:147], s[8:9]
	v_pk_mul_f32 v[150:151], v[148:149], s[10:11]
	v_mov_b32_e32 v4, v23
	v_mov_b32_e32 v18, v1
	v_pk_add_f32 v[16:17], v[16:17], v[20:21]
	s_waitcnt lgkmcnt(0)
	v_pk_add_f32 v[144:145], v[182:183], v[142:143]
	v_pk_fma_f32 v[148:149], v[148:149], s[10:11], v[146:147]
	v_pk_fma_f32 v[138:139], v[138:139], s[12:13], v[132:133]
	v_pk_add_f32 v[20:21], v[134:135], v[20:21] neg_lo:[0,1] neg_hi:[0,1]
	s_mov_b32 s16, 0xbf5ff5aa
	v_pk_add_f32 v[0:1], v[4:5], v[18:19] neg_lo:[0,1] neg_hi:[0,1]
	s_mov_b32 s18, 0x3f3bfb3b
	v_mov_b32_e32 v4, v150
	v_mov_b32_e32 v5, v147
	;; [unrolled: 1-line block ×6, first 2 shown]
	v_pk_fma_f32 v[142:143], v[142:143], s[6:7], v[144:145] op_sel_hi:[1,0,1] neg_lo:[1,0,0] neg_hi:[1,0,0]
	v_pk_fma_f32 v[4:5], v[0:1], s[18:19], v[4:5] op_sel_hi:[1,0,1] neg_lo:[1,0,1] neg_hi:[1,0,1]
	;; [unrolled: 1-line block ×5, first 2 shown]
	v_pk_fma_f32 v[138:139], v[16:17], s[0:1], v[138:139] op_sel_hi:[1,0,1]
	v_pk_add_f32 v[4:5], v[4:5], v[142:143]
	v_pk_fma_f32 v[18:19], v[16:17], s[0:1], v[18:19] op_sel_hi:[1,0,1]
	v_pk_add_f32 v[0:1], v[0:1], v[142:143]
	;; [unrolled: 2-line block ×3, first 2 shown]
	v_pk_add_f32 v[4:5], v[4:5], v[18:19] neg_lo:[0,1] neg_hi:[0,1]
	v_pk_add_f32 v[20:21], v[0:1], v[16:17] neg_lo:[0,1] neg_hi:[0,1]
	v_pk_add_f32 v[0:1], v[0:1], v[16:17]
	v_accvgpr_read_b32 v47, a42
	v_mov_b32_e32 v19, v5
	v_mov_b32_e32 v17, v1
	;; [unrolled: 1-line block ×4, first 2 shown]
	s_barrier
	ds_write2_b64 v47, v[0:1], v[4:5] offset0:52 offset1:65
	v_mov_b32_e32 v0, v97
	v_pk_mul_f32 v[4:5], v[12:13], v[96:97] op_sel_hi:[1,0]
	v_pk_add_f32 v[148:149], v[148:149], v[142:143]
	v_pk_fma_f32 v[0:1], v[12:13], v[0:1], v[4:5] op_sel:[0,0,1] op_sel_hi:[1,1,0] neg_lo:[0,0,1] neg_hi:[0,0,1]
	v_pk_fma_f32 v[4:5], v[12:13], v[96:97], v[4:5] op_sel:[0,1,1] op_sel_hi:[1,1,0]
	v_pk_mul_f32 v[12:13], v[14:15], v[6:7] op_sel_hi:[1,0]
	v_mov_b32_e32 v4, v7
	v_pk_fma_f32 v[6:7], v[14:15], v[6:7], v[12:13] op_sel:[0,1,1] op_sel_hi:[1,1,0]
	v_mov_b32_e32 v1, v5
	v_pk_fma_f32 v[4:5], v[14:15], v[4:5], v[12:13] op_sel:[0,0,1] op_sel_hi:[1,1,0] neg_lo:[0,0,1] neg_hi:[0,0,1]
	v_mov_b32_e32 v6, v101
	v_pk_mul_f32 v[12:13], v[8:9], v[100:101] op_sel_hi:[1,0]
	v_mov_b32_e32 v5, v7
	v_pk_fma_f32 v[6:7], v[8:9], v[6:7], v[12:13] op_sel:[0,0,1] op_sel_hi:[1,1,0] neg_lo:[0,0,1] neg_hi:[0,0,1]
	v_pk_fma_f32 v[8:9], v[8:9], v[100:101], v[12:13] op_sel:[0,1,1] op_sel_hi:[1,1,0]
	v_pk_mul_f32 v[12:13], v[10:11], v[2:3] op_sel_hi:[1,0]
	v_mov_b32_e32 v8, v3
	v_mov_b32_e32 v7, v9
	v_pk_fma_f32 v[8:9], v[10:11], v[8:9], v[12:13] op_sel:[0,0,1] op_sel_hi:[1,1,0] neg_lo:[0,0,1] neg_hi:[0,0,1]
	v_pk_fma_f32 v[2:3], v[10:11], v[2:3], v[12:13] op_sel:[0,1,1] op_sel_hi:[1,1,0]
	v_pk_add_f32 v[152:153], v[148:149], v[138:139]
	v_pk_add_f32 v[138:139], v[148:149], v[138:139] neg_lo:[0,1] neg_hi:[0,1]
	v_mov_b32_e32 v9, v3
	v_mov_b32_e32 v115, v0
	;; [unrolled: 1-line block ×10, first 2 shown]
	v_pk_add_f32 v[2:3], v[0:1], v[8:9]
	v_pk_add_f32 v[10:11], v[0:1], v[8:9] neg_lo:[0,1] neg_hi:[0,1]
	v_pk_add_f32 v[12:13], v[4:5], v[6:7]
	v_pk_add_f32 v[14:15], v[4:5], v[6:7] neg_lo:[0,1] neg_hi:[0,1]
	v_pk_add_f32 v[0:1], v[114:115], v[116:117]
	v_pk_add_f32 v[4:5], v[110:111], v[112:113]
	ds_write2_b64 v47, v[144:145], v[148:149] offset1:13
	ds_write2_b64 v47, v[18:19], v[16:17] offset0:26 offset1:39
	ds_write_b64 v47, v[138:139] offset:624
	v_mov_b32_e32 v57, v0
	v_mov_b32_e32 v47, v4
	v_pk_add_f32 v[6:7], v[56:57], v[46:47] neg_lo:[0,1] neg_hi:[0,1]
	v_mov_b32_e32 v20, v13
	v_mov_b32_e32 v21, v46
	;; [unrolled: 1-line block ×8, first 2 shown]
	v_pk_add_f32 v[20:21], v[20:21], v[22:23]
	v_pk_add_f32 v[22:23], v[4:5], v[0:1]
	v_pk_add_f32 v[8:9], v[8:9], v[16:17] neg_lo:[0,1] neg_hi:[0,1]
	v_mov_b32_e32 v16, v10
	v_mov_b32_e32 v18, v6
	;; [unrolled: 1-line block ×9, first 2 shown]
	v_pk_add_f32 v[16:17], v[16:17], v[18:19] neg_lo:[0,1] neg_hi:[0,1]
	v_pk_add_f32 v[46:47], v[0:1], v[46:47] neg_lo:[0,1] neg_hi:[0,1]
	;; [unrolled: 1-line block ×3, first 2 shown]
	v_pk_mul_f32 v[8:9], v[8:9], s[14:15]
	v_pk_mul_f32 v[18:19], v[16:17], s[12:13]
	v_pk_add_f32 v[6:7], v[6:7], v[14:15]
	v_pk_add_f32 v[20:21], v[20:21], v[22:23]
	v_pk_mul_f32 v[46:47], v[46:47], s[8:9]
	v_pk_mul_f32 v[96:97], v[56:57], s[10:11]
	v_mov_b32_e32 v4, v13
	v_mov_b32_e32 v0, v3
	v_pk_add_f32 v[6:7], v[6:7], v[10:11]
	v_pk_add_f32 v[22:23], v[184:185], v[20:21]
	v_pk_fma_f32 v[56:57], v[56:57], s[10:11], v[46:47]
	v_pk_fma_f32 v[16:17], v[16:17], s[12:13], v[8:9]
	v_pk_add_f32 v[10:11], v[14:15], v[10:11] neg_lo:[0,1] neg_hi:[0,1]
	v_pk_add_f32 v[0:1], v[4:5], v[0:1] neg_lo:[0,1] neg_hi:[0,1]
	v_mov_b32_e32 v2, v96
	v_mov_b32_e32 v3, v47
	;; [unrolled: 1-line block ×6, first 2 shown]
	v_pk_fma_f32 v[20:21], v[20:21], s[6:7], v[22:23] op_sel_hi:[1,0,1] neg_lo:[1,0,0] neg_hi:[1,0,0]
	v_pk_fma_f32 v[2:3], v[0:1], s[18:19], v[2:3] op_sel_hi:[1,0,1] neg_lo:[1,0,1] neg_hi:[1,0,1]
	;; [unrolled: 1-line block ×5, first 2 shown]
	v_pk_fma_f32 v[16:17], v[6:7], s[0:1], v[16:17] op_sel_hi:[1,0,1]
	v_pk_add_f32 v[2:3], v[2:3], v[20:21]
	v_pk_fma_f32 v[4:5], v[6:7], s[0:1], v[4:5] op_sel_hi:[1,0,1]
	v_pk_add_f32 v[0:1], v[0:1], v[20:21]
	;; [unrolled: 2-line block ×3, first 2 shown]
	v_pk_add_f32 v[12:13], v[2:3], v[4:5]
	v_pk_add_f32 v[2:3], v[2:3], v[4:5] neg_lo:[0,1] neg_hi:[0,1]
	v_pk_add_f32 v[8:9], v[0:1], v[6:7] neg_lo:[0,1] neg_hi:[0,1]
	v_pk_add_f32 v[0:1], v[0:1], v[6:7]
	v_pk_add_f32 v[100:101], v[56:57], v[16:17]
	v_pk_add_f32 v[16:17], v[56:57], v[16:17] neg_lo:[0,1] neg_hi:[0,1]
	v_accvgpr_read_b32 v55, a31
	v_mov_b32_e32 v5, v3
	v_mov_b32_e32 v7, v1
	;; [unrolled: 1-line block ×4, first 2 shown]
	v_pk_mul_f32 v[118:119], v[154:155], s[12:13]
	v_mov_b32_e32 v56, v100
	v_mov_b32_e32 v57, v17
	;; [unrolled: 1-line block ×4, first 2 shown]
	ds_write2_b64 v55, v[0:1], v[2:3] offset0:52 offset1:65
	v_mov_b32_e32 v17, v101
	v_mov_b32_e32 v0, v98
	;; [unrolled: 1-line block ×3, first 2 shown]
	v_accvgpr_read_b32 v12, a9
	ds_write2_b64 v55, v[22:23], v[56:57] offset1:13
	ds_write2_b64 v55, v[4:5], v[6:7] offset0:26 offset1:39
	ds_write_b64 v55, v[16:17] offset:624
	ds_write2_b64 v12, v[102:103], v[0:1] offset1:13
	v_pk_add_f32 v[0:1], v[44:45], v[36:37] neg_lo:[0,1] neg_hi:[0,1]
	v_pk_add_f32 v[2:3], v[40:41], v[38:39] neg_lo:[0,1] neg_hi:[0,1]
	v_mov_b32_e32 v4, v62
	v_mov_b32_e32 v5, v59
	v_mov_b32_e32 v6, v118
	v_mov_b32_e32 v7, v123
	v_mov_b32_e32 v59, v63
	v_mov_b32_e32 v123, v119
	v_pk_fma_f32 v[4:5], v[0:1], s[18:19], v[4:5] op_sel_hi:[1,0,1] neg_lo:[1,0,1] neg_hi:[1,0,1]
	v_pk_fma_f32 v[6:7], v[2:3], s[16:17], v[6:7] op_sel_hi:[1,0,1] neg_lo:[1,0,1] neg_hi:[1,0,1]
	;; [unrolled: 1-line block ×4, first 2 shown]
	v_pk_add_f32 v[4:5], v[4:5], v[120:121]
	v_pk_fma_f32 v[6:7], v[42:43], s[0:1], v[6:7] op_sel_hi:[1,0,1]
	v_pk_add_f32 v[0:1], v[0:1], v[120:121]
	v_pk_fma_f32 v[2:3], v[42:43], s[0:1], v[2:3] op_sel_hi:[1,0,1]
	v_pk_add_f32 v[8:9], v[4:5], v[6:7] neg_lo:[0,1] neg_hi:[0,1]
	v_pk_add_f32 v[4:5], v[4:5], v[6:7]
	v_pk_add_f32 v[10:11], v[0:1], v[2:3]
	v_pk_add_f32 v[0:1], v[0:1], v[2:3] neg_lo:[0,1] neg_hi:[0,1]
	v_mov_b32_e32 v6, v4
	v_mov_b32_e32 v7, v9
	;; [unrolled: 1-line block ×7, first 2 shown]
	ds_write2_b64 v12, v[6:7], v[2:3] offset0:26 offset1:39
	ds_write2_b64 v12, v[10:11], v[8:9] offset0:52 offset1:65
	ds_write_b64 v12, v[60:61] offset:624
	s_waitcnt lgkmcnt(0)
	s_barrier
	ds_read2_b64 v[40:43], v129 offset0:54 offset1:145
	ds_read2_b64 v[12:15], v127 offset0:34 offset1:125
	;; [unrolled: 1-line block ×9, first 2 shown]
	v_mov_b32_e32 v8, v25
	s_waitcnt lgkmcnt(4)
	v_pk_mul_f32 v[110:111], v[8:9], v[102:103] op_sel:[0,1] op_sel_hi:[1,0]
	v_pk_mul_f32 v[8:9], v[24:25], v[102:103] op_sel:[0,1] op_sel_hi:[1,0]
	v_pk_mul_f32 v[62:63], v[24:25], v[102:103]
	v_mov_b32_e32 v8, v9
	v_pk_fma_f32 v[102:103], v[24:25], v[102:103], v[8:9] op_sel:[0,1,0] op_sel_hi:[1,0,1] neg_lo:[0,0,1] neg_hi:[0,0,1]
	v_mov_b32_e32 v8, v27
	s_waitcnt lgkmcnt(1)
	v_pk_mul_f32 v[114:115], v[8:9], v[4:5] op_sel:[0,1] op_sel_hi:[1,0]
	v_pk_mul_f32 v[8:9], v[26:27], v[4:5] op_sel:[0,1] op_sel_hi:[1,0]
	v_pk_mul_f32 v[112:113], v[26:27], v[4:5]
	v_mov_b32_e32 v8, v9
	v_pk_fma_f32 v[116:117], v[26:27], v[4:5], v[8:9] op_sel:[0,1,0] op_sel_hi:[1,0,1] neg_lo:[0,0,1] neg_hi:[0,0,1]
	v_mul_f32_e32 v4, v33, v20
	v_fma_f32 v58, v32, v21, -v4
	v_mul_f32_e32 v4, v31, v2
	v_fma_f32 v60, v30, v3, -v4
	v_pk_mul_f32 v[4:5], v[64:65], v[22:23] op_sel:[0,1] op_sel_hi:[1,0]
	ds_read_b64 v[64:65], v136 offset:14560
	v_pk_mul_f32 v[8:9], v[66:67], v[100:101]
	s_waitcnt lgkmcnt(1)
	v_mul_f32_e32 v11, v48, v18
	v_mul_f32_e32 v45, v49, v19
	v_mov_b32_e32 v10, v8
	v_mov_b32_e32 v44, v9
	s_waitcnt lgkmcnt(0)
	v_pk_mul_f32 v[8:9], v[50:51], v[64:65] op_sel:[0,1] op_sel_hi:[1,0]
	v_pk_add_f32 v[120:121], v[10:11], v[44:45]
	v_mov_b32_e32 v10, v4
	v_mov_b32_e32 v11, v8
	;; [unrolled: 1-line block ×3, first 2 shown]
	v_pk_add_f32 v[132:133], v[10:11], v[8:9] neg_lo:[0,1] neg_hi:[0,1]
	v_pk_mul_f32 v[134:135], v[32:33], v[42:43] op_sel_hi:[1,0]
	v_mov_b32_e32 v5, v132
	v_pk_add_f32 v[4:5], v[4:5], v[132:133]
	ds_read2_b64 v[8:11], v136 offset1:91
	v_mov_b32_e32 v4, v121
	v_pk_add_f32 v[44:45], v[120:121], v[4:5]
	v_mov_b32_e32 v4, v43
	v_pk_fma_f32 v[138:139], v[32:33], v[4:5], v[134:135] op_sel:[0,0,1] op_sel_hi:[1,1,0] neg_lo:[0,0,1] neg_hi:[0,0,1]
	v_pk_fma_f32 v[42:43], v[32:33], v[42:43], v[134:135] op_sel:[0,1,1] op_sel_hi:[1,1,0]
	v_mov_b32_e32 v4, v13
	v_mov_b32_e32 v139, v43
	v_pk_mul_f32 v[42:43], v[34:35], v[12:13] op_sel_hi:[1,0]
	v_mov_b32_e32 v113, v138
	v_pk_fma_f32 v[134:135], v[34:35], v[4:5], v[42:43] op_sel:[0,0,1] op_sel_hi:[1,1,0] neg_lo:[0,0,1] neg_hi:[0,0,1]
	v_pk_fma_f32 v[12:13], v[34:35], v[12:13], v[42:43] op_sel:[0,1,1] op_sel_hi:[1,1,0]
	v_mov_b32_e32 v4, v99
	v_mov_b32_e32 v135, v13
	v_pk_mul_f32 v[12:13], v[28:29], v[98:99] op_sel_hi:[1,0]
	;; [unrolled: 6-line block ×3, first 2 shown]
	v_mov_b32_e32 v111, v42
	v_pk_fma_f32 v[98:99], v[30:31], v[4:5], v[12:13] op_sel:[0,0,1] op_sel_hi:[1,1,0] neg_lo:[0,0,1] neg_hi:[0,0,1]
	v_pk_fma_f32 v[0:1], v[30:31], v[0:1], v[12:13] op_sel:[0,1,1] op_sel_hi:[1,1,0]
	v_mov_b32_e32 v115, v98
	v_mov_b32_e32 v99, v1
	v_pk_add_f32 v[0:1], v[138:139], v[98:99]
	v_pk_add_f32 v[12:13], v[138:139], v[98:99] neg_lo:[0,1] neg_hi:[0,1]
	v_pk_add_f32 v[140:141], v[134:135], v[42:43]
	v_pk_add_f32 v[142:143], v[134:135], v[42:43] neg_lo:[0,1] neg_hi:[0,1]
	v_pk_add_f32 v[98:99], v[112:113], v[114:115]
	v_pk_add_f32 v[42:43], v[62:63], v[110:111]
	v_mov_b32_e32 v117, v98
	v_mov_b32_e32 v103, v42
	v_pk_add_f32 v[62:63], v[116:117], v[102:103] neg_lo:[0,1] neg_hi:[0,1]
	v_mov_b32_e32 v134, v141
	v_mov_b32_e32 v135, v102
	;; [unrolled: 1-line block ×8, first 2 shown]
	v_pk_add_f32 v[102:103], v[134:135], v[102:103]
	v_pk_add_f32 v[116:117], v[42:43], v[98:99]
	v_pk_add_f32 v[110:111], v[110:111], v[112:113] neg_lo:[0,1] neg_hi:[0,1]
	v_mov_b32_e32 v112, v12
	v_mov_b32_e32 v114, v62
	;; [unrolled: 1-line block ×8, first 2 shown]
	v_pk_add_f32 v[112:113], v[112:113], v[114:115] neg_lo:[0,1] neg_hi:[0,1]
	v_pk_add_f32 v[134:135], v[98:99], v[134:135] neg_lo:[0,1] neg_hi:[0,1]
	;; [unrolled: 1-line block ×3, first 2 shown]
	v_pk_mul_f32 v[110:111], v[110:111], s[14:15]
	v_pk_mul_f32 v[114:115], v[112:113], s[12:13]
	v_pk_add_f32 v[62:63], v[62:63], v[142:143]
	v_pk_add_f32 v[102:103], v[102:103], v[116:117]
	v_pk_mul_f32 v[116:117], v[134:135], s[8:9]
	v_pk_mul_f32 v[134:135], v[138:139], s[10:11]
	v_mov_b32_e32 v42, v141
	v_mov_b32_e32 v98, v1
	v_pk_add_f32 v[62:63], v[62:63], v[12:13]
	s_waitcnt lgkmcnt(0)
	v_pk_add_f32 v[8:9], v[8:9], v[102:103]
	v_pk_add_f32 v[12:13], v[142:143], v[12:13] neg_lo:[0,1] neg_hi:[0,1]
	v_pk_add_f32 v[0:1], v[42:43], v[98:99] neg_lo:[0,1] neg_hi:[0,1]
	v_mov_b32_e32 v42, v134
	v_mov_b32_e32 v43, v117
	;; [unrolled: 1-line block ×4, first 2 shown]
	v_pk_fma_f32 v[102:103], v[102:103], s[6:7], v[8:9] op_sel_hi:[1,0,1] neg_lo:[1,0,0] neg_hi:[1,0,0]
	v_pk_fma_f32 v[138:139], v[138:139], s[10:11], v[116:117]
	v_pk_fma_f32 v[112:113], v[112:113], s[12:13], v[110:111]
	v_pk_fma_f32 v[42:43], v[0:1], s[18:19], v[42:43] op_sel_hi:[1,0,1] neg_lo:[1,0,1] neg_hi:[1,0,1]
	v_pk_fma_f32 v[98:99], v[12:13], s[16:17], v[98:99] op_sel_hi:[1,0,1] neg_lo:[1,0,1] neg_hi:[1,0,1]
	v_pk_add_f32 v[138:139], v[138:139], v[102:103]
	v_pk_fma_f32 v[112:113], v[62:63], s[0:1], v[112:113] op_sel_hi:[1,0,1]
	v_pk_add_f32 v[42:43], v[42:43], v[102:103]
	v_pk_fma_f32 v[98:99], v[62:63], s[0:1], v[98:99] op_sel_hi:[1,0,1]
	v_mov_b32_e32 v117, v135
	v_mov_b32_e32 v111, v115
	v_pk_add_f32 v[144:145], v[138:139], v[112:113]
	v_pk_add_f32 v[112:113], v[138:139], v[112:113] neg_lo:[0,1] neg_hi:[0,1]
	v_pk_add_f32 v[138:139], v[42:43], v[98:99]
	v_pk_add_f32 v[42:43], v[42:43], v[98:99] neg_lo:[0,1] neg_hi:[0,1]
	v_pk_fma_f32 v[0:1], v[0:1], s[18:19], v[116:117] op_sel_hi:[1,0,1] neg_lo:[0,0,1] neg_hi:[0,0,1]
	v_pk_fma_f32 v[12:13], v[12:13], s[16:17], v[110:111] op_sel_hi:[1,0,1] neg_lo:[0,0,1] neg_hi:[0,0,1]
	v_mov_b32_e32 v67, v101
	v_mov_b32_e32 v99, v100
	v_accvgpr_read_b32 v101, a67
	v_mov_b32_e32 v118, v23
	v_pk_add_f32 v[0:1], v[0:1], v[102:103]
	v_pk_fma_f32 v[12:13], v[62:63], s[0:1], v[12:13] op_sel_hi:[1,0,1]
	v_accvgpr_read_b32 v103, a57
	v_mov_b32_e32 v98, v39
	v_accvgpr_read_b32 v100, a66
	v_mov_b32_e32 v119, v38
	v_pk_add_f32 v[62:63], v[0:1], v[12:13] neg_lo:[0,1] neg_hi:[0,1]
	v_pk_add_f32 v[0:1], v[0:1], v[12:13]
	v_accvgpr_read_b32 v102, a56
	v_mov_b32_e32 v4, v103
	v_mov_b32_e32 v12, v103
	v_mov_b32_e32 v13, v66
	v_mov_b32_e32 v66, v38
	v_pk_mul_f32 v[98:99], v[100:101], v[98:99]
	v_mov_b32_e32 v23, v39
	v_pk_mul_f32 v[38:39], v[52:53], v[118:119]
	v_pk_fma_f32 v[100:101], v[4:5], v[66:67], v[98:99]
	v_pk_fma_f32 v[12:13], v[12:13], v[66:67], v[98:99] neg_lo:[0,0,1] neg_hi:[0,0,1]
	v_pk_fma_f32 v[52:53], v[102:103], v[22:23], v[38:39]
	v_pk_fma_f32 v[22:23], v[102:103], v[22:23], v[38:39] neg_lo:[0,0,1] neg_hi:[0,0,1]
	v_mov_b32_e32 v39, v19
	v_mov_b32_e32 v67, v18
	v_accvgpr_read_b32 v18, a68
	v_mov_b32_e32 v66, v96
	v_accvgpr_read_b32 v19, a69
	v_accvgpr_read_b32 v99, a55
	v_mov_b32_e32 v38, v97
	v_pk_mul_f32 v[18:19], v[18:19], v[66:67]
	v_accvgpr_read_b32 v98, a54
	v_mov_b32_e32 v122, v65
	v_pk_fma_f32 v[66:67], v[98:99], v[38:39], v[18:19]
	v_pk_fma_f32 v[18:19], v[98:99], v[38:39], v[18:19] neg_lo:[0,0,1] neg_hi:[0,0,1]
	v_accvgpr_read_b32 v38, a70
	v_mov_b32_e32 v39, v98
	v_mov_b32_e32 v123, v96
	;; [unrolled: 1-line block ×4, first 2 shown]
	v_pk_mul_f32 v[38:39], v[38:39], v[122:123]
	v_mov_b32_e32 v101, v13
	v_pk_fma_f32 v[96:97], v[50:51], v[64:65], v[38:39]
	v_pk_fma_f32 v[38:39], v[50:51], v[64:65], v[38:39] neg_lo:[0,0,1] neg_hi:[0,0,1]
	v_mov_b32_e32 v53, v23
	v_mov_b32_e32 v67, v19
	;; [unrolled: 1-line block ×10, first 2 shown]
	v_pk_add_f32 v[18:19], v[100:101], v[66:67]
	v_pk_add_f32 v[52:53], v[52:53], v[96:97]
	v_mov_b32_e32 v38, v39
	v_mov_b32_e32 v39, v66
	;; [unrolled: 1-line block ×4, first 2 shown]
	v_pk_add_f32 v[50:51], v[50:51], v[64:65] neg_lo:[0,1] neg_hi:[0,1]
	v_pk_add_f32 v[12:13], v[12:13], v[120:121] neg_lo:[0,1] neg_hi:[0,1]
	;; [unrolled: 1-line block ×3, first 2 shown]
	v_mov_b32_e32 v45, v19
	v_mov_b32_e32 v4, v52
	;; [unrolled: 1-line block ×6, first 2 shown]
	v_pk_add_f32 v[38:39], v[44:45], v[4:5]
	v_pk_add_f32 v[64:65], v[64:65], v[66:67] neg_lo:[0,1] neg_hi:[0,1]
	v_pk_add_f32 v[66:67], v[52:53], v[18:19] neg_lo:[0,1] neg_hi:[0,1]
	v_mov_b32_e32 v98, v22
	v_mov_b32_e32 v99, v51
	;; [unrolled: 1-line block ×5, first 2 shown]
	v_pk_add_f32 v[96:97], v[22:23], v[12:13]
	v_pk_add_f32 v[98:99], v[98:99], v[100:101] neg_lo:[0,1] neg_hi:[0,1]
	v_mov_b32_e32 v100, v50
	v_mov_b32_e32 v23, v13
	v_pk_add_f32 v[18:19], v[18:19], v[38:39]
	v_pk_add_f32 v[22:23], v[100:101], v[22:23] neg_lo:[0,1] neg_hi:[0,1]
	v_pk_add_f32 v[40:41], v[40:41], v[18:19]
	v_pk_mul_f32 v[52:53], v[64:65], s[8:9]
	v_pk_mul_f32 v[98:99], v[98:99], s[14:15]
	v_pk_add_f32 v[38:39], v[96:97], v[50:51]
	v_pk_mul_f32 v[64:65], v[66:67], s[10:11]
	v_pk_mul_f32 v[96:97], v[22:23], s[12:13]
	v_pk_fma_f32 v[18:19], v[18:19], s[6:7], v[40:41] op_sel_hi:[1,0,1] neg_lo:[1,0,0] neg_hi:[1,0,0]
	v_pk_fma_f32 v[66:67], v[66:67], s[10:11], v[52:53]
	v_pk_fma_f32 v[22:23], v[22:23], s[12:13], v[98:99]
	v_mul_f32_e32 v55, v35, v15
	v_pk_add_f32 v[66:67], v[66:67], v[18:19]
	v_pk_fma_f32 v[22:23], v[38:39], s[0:1], v[22:23] op_sel_hi:[1,0,1]
	v_fmac_f32_e32 v55, v34, v14
	v_pk_add_f32 v[100:101], v[66:67], v[22:23] neg_lo:[0,1] neg_hi:[0,1]
	v_pk_add_f32 v[22:23], v[66:67], v[22:23]
	v_mov_b32_e32 v67, v34
	v_mov_b32_e32 v34, v25
	;; [unrolled: 1-line block ×7, first 2 shown]
	v_pk_mul_f32 v[14:15], v[34:35], v[110:111]
	v_mul_f32_e32 v57, v29, v17
	v_pk_fma_f32 v[34:35], v[24:25], v[36:37], v[14:15]
	v_pk_fma_f32 v[14:15], v[66:67], v[102:103], v[14:15] neg_lo:[0,0,1] neg_hi:[0,0,1]
	v_mov_b32_e32 v66, v20
	v_mov_b32_e32 v24, v33
	;; [unrolled: 1-line block ×4, first 2 shown]
	v_accvgpr_read_b32 v32, a44
	v_mov_b32_e32 v67, v37
	v_pk_mul_f32 v[20:21], v[24:25], v[20:21]
	v_accvgpr_read_b32 v33, a45
	v_fmac_f32_e32 v57, v28, v16
	v_pk_fma_f32 v[24:25], v[32:33], v[66:67], v[20:21]
	v_pk_fma_f32 v[20:21], v[32:33], v[66:67], v[20:21] neg_lo:[0,0,1] neg_hi:[0,0,1]
	v_mov_b32_e32 v33, v28
	v_mov_b32_e32 v28, v27
	v_mov_b32_e32 v66, v7
	v_mov_b32_e32 v67, v16
	v_mov_b32_e32 v32, v26
	v_mov_b32_e32 v36, v6
	v_mov_b32_e32 v37, v17
	v_pk_mul_f32 v[16:17], v[28:29], v[66:67]
	v_mov_b32_e32 v35, v15
	v_pk_fma_f32 v[28:29], v[26:27], v[6:7], v[16:17]
	v_pk_fma_f32 v[16:17], v[32:33], v[36:37], v[16:17] neg_lo:[0,0,1] neg_hi:[0,0,1]
	v_mov_b32_e32 v32, v2
	v_mov_b32_e32 v26, v31
	;; [unrolled: 1-line block ×4, first 2 shown]
	v_pk_mul_f32 v[2:3], v[26:27], v[2:3]
	v_accvgpr_read_b32 v26, a46
	v_mov_b32_e32 v33, v7
	v_accvgpr_read_b32 v27, a47
	v_pk_fma_f32 v[6:7], v[26:27], v[32:33], v[2:3]
	v_pk_fma_f32 v[2:3], v[26:27], v[32:33], v[2:3] neg_lo:[0,0,1] neg_hi:[0,0,1]
	v_mov_b32_e32 v25, v21
	v_mov_b32_e32 v29, v17
	;; [unrolled: 1-line block ×3, first 2 shown]
	v_add_f32_e32 v47, v58, v60
	v_add_f32_e32 v48, v55, v57
	v_mov_b32_e32 v59, v24
	v_mov_b32_e32 v61, v6
	;; [unrolled: 1-line block ×4, first 2 shown]
	v_pk_add_f32 v[16:17], v[34:35], v[28:29]
	v_pk_add_f32 v[6:7], v[24:25], v[6:7]
	v_mov_b32_e32 v2, v3
	v_mov_b32_e32 v3, v28
	v_mov_b32_e32 v20, v21
	v_mov_b32_e32 v21, v34
	v_pk_add_f32 v[26:27], v[58:59], v[60:61] neg_lo:[0,1] neg_hi:[0,1]
	v_pk_add_f32 v[14:15], v[54:55], v[56:57] neg_lo:[0,1] neg_hi:[0,1]
	v_pk_add_f32 v[2:3], v[2:3], v[20:21] neg_lo:[0,1] neg_hi:[0,1]
	v_mov_b32_e32 v49, v17
	v_mov_b32_e32 v46, v6
	v_mov_b32_e32 v24, v16
	v_mov_b32_e32 v25, v47
	v_mov_b32_e32 v28, v48
	v_mov_b32_e32 v29, v7
	v_pk_add_f32 v[20:21], v[48:49], v[46:47]
	v_pk_add_f32 v[24:25], v[24:25], v[28:29] neg_lo:[0,1] neg_hi:[0,1]
	v_pk_add_f32 v[28:29], v[6:7], v[16:17] neg_lo:[0,1] neg_hi:[0,1]
	v_mov_b32_e32 v32, v2
	v_mov_b32_e32 v33, v27
	;; [unrolled: 1-line block ×5, first 2 shown]
	v_pk_add_f32 v[30:31], v[2:3], v[14:15]
	v_pk_add_f32 v[32:33], v[32:33], v[34:35] neg_lo:[0,1] neg_hi:[0,1]
	v_mov_b32_e32 v34, v26
	v_mov_b32_e32 v3, v15
	v_pk_add_f32 v[6:7], v[16:17], v[20:21]
	v_pk_add_f32 v[2:3], v[34:35], v[2:3] neg_lo:[0,1] neg_hi:[0,1]
	v_pk_add_f32 v[10:11], v[10:11], v[6:7]
	v_pk_mul_f32 v[20:21], v[24:25], s[8:9]
	v_pk_mul_f32 v[32:33], v[32:33], s[14:15]
	v_pk_add_f32 v[16:17], v[30:31], v[26:27]
	v_pk_mul_f32 v[24:25], v[28:29], s[10:11]
	v_pk_mul_f32 v[30:31], v[2:3], s[12:13]
	v_pk_fma_f32 v[6:7], v[6:7], s[6:7], v[10:11] op_sel_hi:[1,0,1] neg_lo:[1,0,0] neg_hi:[1,0,0]
	v_pk_fma_f32 v[28:29], v[28:29], s[10:11], v[20:21]
	v_pk_fma_f32 v[2:3], v[2:3], s[12:13], v[32:33]
	v_pk_add_f32 v[28:29], v[28:29], v[6:7]
	v_pk_fma_f32 v[2:3], v[16:17], s[0:1], v[2:3] op_sel_hi:[1,0,1]
	s_nop 0
	v_pk_add_f32 v[34:35], v[28:29], v[2:3] neg_lo:[0,1] neg_hi:[0,1]
	v_pk_add_f32 v[2:3], v[28:29], v[2:3]
	v_mov_b32_e32 v28, v144
	v_mov_b32_e32 v29, v113
	s_barrier
	ds_write2_b64 v136, v[8:9], v[28:29] offset1:91
	v_mov_b32_e32 v8, v138
	v_mov_b32_e32 v9, v43
	;; [unrolled: 1-line block ×5, first 2 shown]
	ds_write2_b64 v129, v[8:9], v[28:29] offset0:54 offset1:145
	ds_write2_b64 v127, v[112:113], v[10:11] offset0:34 offset1:125
	v_pk_add_f32 v[8:9], v[48:49], v[46:47] neg_lo:[0,1] neg_hi:[0,1]
	v_pk_add_f32 v[10:11], v[14:15], v[26:27] neg_lo:[0,1] neg_hi:[0,1]
	v_mov_b32_e32 v14, v24
	v_mov_b32_e32 v15, v21
	;; [unrolled: 1-line block ×4, first 2 shown]
	v_pk_fma_f32 v[14:15], v[8:9], s[18:19], v[14:15] op_sel_hi:[1,0,1] neg_lo:[1,0,1] neg_hi:[1,0,1]
	v_pk_fma_f32 v[26:27], v[10:11], s[16:17], v[26:27] op_sel_hi:[1,0,1] neg_lo:[1,0,1] neg_hi:[1,0,1]
	v_pk_add_f32 v[14:15], v[14:15], v[6:7]
	v_pk_fma_f32 v[26:27], v[16:17], s[0:1], v[26:27] op_sel_hi:[1,0,1]
	v_mov_b32_e32 v1, v63
	v_mov_b32_e32 v43, v139
	v_pk_add_f32 v[28:29], v[14:15], v[26:27] neg_lo:[0,1] neg_hi:[0,1]
	v_pk_add_f32 v[14:15], v[14:15], v[26:27]
	ds_write2_b64 v128, v[0:1], v[42:43] offset0:108 offset1:199
	v_mov_b32_e32 v0, v2
	v_mov_b32_e32 v1, v35
	;; [unrolled: 1-line block ×6, first 2 shown]
	ds_write2_b64 v124, v[0:1], v[26:27] offset0:88 offset1:179
	v_pk_fma_f32 v[0:1], v[8:9], s[18:19], v[20:21] op_sel_hi:[1,0,1] neg_lo:[0,0,1] neg_hi:[0,0,1]
	v_pk_fma_f32 v[8:9], v[10:11], s[16:17], v[32:33] op_sel_hi:[1,0,1] neg_lo:[0,0,1] neg_hi:[0,0,1]
	v_pk_add_f32 v[0:1], v[0:1], v[6:7]
	v_pk_fma_f32 v[6:7], v[16:17], s[0:1], v[8:9] op_sel_hi:[1,0,1]
	v_accvgpr_read_b32 v14, a43
	v_pk_add_f32 v[8:9], v[0:1], v[6:7]
	v_pk_add_f32 v[0:1], v[0:1], v[6:7] neg_lo:[0,1] neg_hi:[0,1]
	v_mov_b32_e32 v7, v9
	v_mov_b32_e32 v6, v0
	;; [unrolled: 1-line block ×7, first 2 shown]
	v_add_u32_e32 v2, 0x2400, v14
	ds_write2_b64 v130, v[6:7], v[8:9] offset0:142 offset1:233
	ds_write2_b64 v107, v[28:29], v[34:35] offset0:68 offset1:159
	;; [unrolled: 1-line block ×3, first 2 shown]
	v_pk_add_f32 v[0:1], v[44:45], v[4:5] neg_lo:[0,1] neg_hi:[0,1]
	v_pk_add_f32 v[2:3], v[12:13], v[50:51] neg_lo:[0,1] neg_hi:[0,1]
	v_mov_b32_e32 v4, v64
	v_mov_b32_e32 v5, v53
	;; [unrolled: 1-line block ×6, first 2 shown]
	v_pk_fma_f32 v[4:5], v[0:1], s[18:19], v[4:5] op_sel_hi:[1,0,1] neg_lo:[1,0,1] neg_hi:[1,0,1]
	v_pk_fma_f32 v[6:7], v[2:3], s[16:17], v[6:7] op_sel_hi:[1,0,1] neg_lo:[1,0,1] neg_hi:[1,0,1]
	;; [unrolled: 1-line block ×4, first 2 shown]
	v_pk_add_f32 v[4:5], v[4:5], v[18:19]
	v_pk_fma_f32 v[6:7], v[38:39], s[0:1], v[6:7] op_sel_hi:[1,0,1]
	v_pk_add_f32 v[0:1], v[0:1], v[18:19]
	v_pk_fma_f32 v[2:3], v[38:39], s[0:1], v[2:3] op_sel_hi:[1,0,1]
	v_pk_add_f32 v[8:9], v[4:5], v[6:7] neg_lo:[0,1] neg_hi:[0,1]
	v_pk_add_f32 v[4:5], v[4:5], v[6:7]
	v_pk_add_f32 v[10:11], v[0:1], v[2:3]
	v_pk_add_f32 v[0:1], v[0:1], v[2:3] neg_lo:[0,1] neg_hi:[0,1]
	v_mov_b32_e32 v6, v4
	v_mov_b32_e32 v7, v9
	;; [unrolled: 1-line block ×4, first 2 shown]
	v_add_u32_e32 v0, 0x2c00, v14
	ds_write2_b64 v0, v[6:7], v[2:3] offset0:48 offset1:139
	v_mov_b32_e32 v11, v1
	v_mov_b32_e32 v9, v5
	v_add_u32_e32 v0, 0x3000, v14
	v_mov_b32_e32 v101, v23
	ds_write2_b64 v0, v[10:11], v[8:9] offset0:102 offset1:193
	ds_write_b64 v14, v[100:101] offset:14560
	s_waitcnt lgkmcnt(0)
	s_barrier
	ds_read2_b64 v[0:3], v127 offset0:34 offset1:125
	ds_read2_b64 v[4:7], v136 offset1:91
	ds_read2_b64 v[8:11], v126 offset0:122 offset1:213
	v_accvgpr_read_b32 v14, a94
	v_accvgpr_read_b32 v15, a95
	v_accvgpr_read_b32 v16, a92
	s_waitcnt lgkmcnt(2)
	v_pk_mul_f32 v[12:13], v[92:93], v[2:3]
	v_accvgpr_read_b32 v17, a93
	v_pk_fma_f32 v[26:27], v[14:15], v[2:3], v[12:13] op_sel:[0,0,1] op_sel_hi:[1,1,0]
	v_pk_fma_f32 v[2:3], v[14:15], v[2:3], v[12:13] op_sel:[0,0,1] op_sel_hi:[1,1,0] neg_lo:[0,0,1] neg_hi:[0,0,1]
	ds_read2_b64 v[12:15], v124 offset0:88 offset1:179
	v_mov_b32_e32 v27, v3
	s_waitcnt lgkmcnt(1)
	v_pk_mul_f32 v[2:3], v[94:95], v[8:9]
	v_accvgpr_read_b32 v20, a86
	v_pk_fma_f32 v[28:29], v[16:17], v[8:9], v[2:3] op_sel:[0,0,1] op_sel_hi:[1,1,0]
	v_pk_fma_f32 v[2:3], v[16:17], v[8:9], v[2:3] op_sel:[0,0,1] op_sel_hi:[1,1,0] neg_lo:[0,0,1] neg_hi:[0,0,1]
	v_accvgpr_read_b32 v16, a90
	s_waitcnt lgkmcnt(0)
	v_pk_mul_f32 v[8:9], v[88:89], v[12:13]
	v_accvgpr_read_b32 v17, a91
	v_pk_fma_f32 v[30:31], v[16:17], v[12:13], v[8:9] op_sel:[0,0,1] op_sel_hi:[1,1,0]
	v_pk_fma_f32 v[8:9], v[16:17], v[12:13], v[8:9] op_sel:[0,0,1] op_sel_hi:[1,1,0] neg_lo:[0,0,1] neg_hi:[0,0,1]
	v_accvgpr_read_b32 v12, a88
	v_mov_b32_e32 v31, v9
	v_pk_mul_f32 v[8:9], v[90:91], v[10:11]
	v_accvgpr_read_b32 v13, a89
	v_pk_fma_f32 v[32:33], v[12:13], v[10:11], v[8:9] op_sel:[0,0,1] op_sel_hi:[1,1,0]
	v_pk_fma_f32 v[8:9], v[12:13], v[10:11], v[8:9] op_sel:[0,0,1] op_sel_hi:[1,1,0] neg_lo:[0,0,1] neg_hi:[0,0,1]
	v_pk_mul_f32 v[12:13], v[84:85], v[14:15]
	v_mov_b32_e32 v33, v9
	v_pk_add_f32 v[8:9], v[6:7], v[30:31]
	v_accvgpr_read_b32 v21, a87
	v_pk_add_f32 v[34:35], v[8:9], v[32:33]
	ds_read2_b64 v[8:11], v129 offset0:54 offset1:145
	ds_read2_b64 v[16:19], v125 offset0:48 offset1:139
	v_pk_fma_f32 v[36:37], v[20:21], v[14:15], v[12:13] op_sel:[0,0,1] op_sel_hi:[1,1,0]
	v_pk_fma_f32 v[12:13], v[20:21], v[14:15], v[12:13] op_sel:[0,0,1] op_sel_hi:[1,1,0] neg_lo:[0,0,1] neg_hi:[0,0,1]
	v_accvgpr_read_b32 v22, a84
	v_mov_b32_e32 v37, v13
	ds_read2_b64 v[12:15], v130 offset0:142 offset1:233
	s_waitcnt lgkmcnt(1)
	v_pk_mul_f32 v[20:21], v[86:87], v[16:17]
	v_accvgpr_read_b32 v23, a85
	v_pk_fma_f32 v[38:39], v[22:23], v[16:17], v[20:21] op_sel:[0,0,1] op_sel_hi:[1,1,0]
	v_pk_fma_f32 v[16:17], v[22:23], v[16:17], v[20:21] op_sel:[0,0,1] op_sel_hi:[1,1,0] neg_lo:[0,0,1] neg_hi:[0,0,1]
	v_accvgpr_read_b32 v20, a82
	v_mov_b32_e32 v39, v17
	v_pk_add_f32 v[16:17], v[8:9], v[36:37]
	v_accvgpr_read_b32 v21, a83
	v_pk_add_f32 v[40:41], v[16:17], v[38:39]
	s_waitcnt lgkmcnt(0)
	v_pk_mul_f32 v[16:17], v[80:81], v[12:13]
	v_accvgpr_read_b32 v50, a78
	v_pk_fma_f32 v[42:43], v[20:21], v[12:13], v[16:17] op_sel:[0,0,1] op_sel_hi:[1,1,0]
	v_pk_fma_f32 v[12:13], v[20:21], v[12:13], v[16:17] op_sel:[0,0,1] op_sel_hi:[1,1,0] neg_lo:[0,0,1] neg_hi:[0,0,1]
	v_accvgpr_read_b32 v16, a80
	v_mov_b32_e32 v43, v13
	v_pk_mul_f32 v[12:13], v[82:83], v[18:19]
	v_accvgpr_read_b32 v17, a81
	v_pk_fma_f32 v[44:45], v[16:17], v[18:19], v[12:13] op_sel:[0,0,1] op_sel_hi:[1,1,0]
	v_pk_fma_f32 v[12:13], v[16:17], v[18:19], v[12:13] op_sel:[0,0,1] op_sel_hi:[1,1,0] neg_lo:[0,0,1] neg_hi:[0,0,1]
	v_accvgpr_read_b32 v51, a79
	v_mov_b32_e32 v45, v13
	v_pk_add_f32 v[12:13], v[10:11], v[42:43]
	ds_read2_b64 v[16:19], v128 offset0:108 offset1:199
	ds_read2_b64 v[20:23], v109 offset0:102 offset1:193
	v_pk_add_f32 v[46:47], v[12:13], v[44:45]
	v_pk_mul_f32 v[12:13], v[76:77], v[14:15]
	v_mov_b32_e32 v29, v3
	v_pk_fma_f32 v[48:49], v[50:51], v[14:15], v[12:13] op_sel:[0,0,1] op_sel_hi:[1,1,0]
	v_pk_fma_f32 v[12:13], v[50:51], v[14:15], v[12:13] op_sel:[0,0,1] op_sel_hi:[1,1,0] neg_lo:[0,0,1] neg_hi:[0,0,1]
	v_pk_add_f32 v[2:3], v[4:5], v[26:27]
	v_mov_b32_e32 v49, v13
	ds_read2_b64 v[12:15], v107 offset0:68 offset1:159
	v_accvgpr_read_b32 v54, a76
	v_pk_add_f32 v[2:3], v[2:3], v[28:29]
	s_waitcnt lgkmcnt(1)
	v_pk_mul_f32 v[50:51], v[78:79], v[20:21]
	v_accvgpr_read_b32 v55, a77
	v_accvgpr_read_b32 v56, a74
	v_mad_u64_u32 v[24:25], s[0:1], s7, v160, v[108:109]
	v_pk_fma_f32 v[52:53], v[54:55], v[20:21], v[50:51] op_sel:[0,0,1] op_sel_hi:[1,1,0]
	v_pk_fma_f32 v[20:21], v[54:55], v[20:21], v[50:51] op_sel:[0,0,1] op_sel_hi:[1,1,0] neg_lo:[0,0,1] neg_hi:[0,0,1]
	s_waitcnt lgkmcnt(0)
	v_pk_mul_f32 v[50:51], v[72:73], v[12:13]
	v_accvgpr_read_b32 v57, a75
	ds_write2_b64 v136, v[2:3], v[34:35] offset1:91
	v_pk_add_f32 v[2:3], v[36:37], v[38:39]
	v_pk_fma_f32 v[54:55], v[56:57], v[12:13], v[50:51] op_sel:[0,0,1] op_sel_hi:[1,1,0]
	v_pk_fma_f32 v[12:13], v[56:57], v[12:13], v[50:51] op_sel:[0,0,1] op_sel_hi:[1,1,0] neg_lo:[0,0,1] neg_hi:[0,0,1]
	v_accvgpr_read_b32 v56, a72
	v_pk_fma_f32 v[2:3], v[2:3], 0.5, v[8:9] op_sel_hi:[1,0,1] neg_lo:[1,0,0] neg_hi:[1,0,0]
	v_pk_add_f32 v[8:9], v[36:37], v[38:39] neg_lo:[0,1] neg_hi:[0,1]
	s_mov_b32 s0, 0x3f5db3d7
	v_mov_b32_e32 v55, v13
	v_pk_mul_f32 v[12:13], v[74:75], v[22:23]
	v_accvgpr_read_b32 v57, a73
	v_pk_mul_f32 v[8:9], v[8:9], s[0:1] op_sel_hi:[1,0]
	v_pk_fma_f32 v[50:51], v[56:57], v[22:23], v[12:13] op_sel:[0,0,1] op_sel_hi:[1,1,0]
	v_pk_fma_f32 v[12:13], v[56:57], v[22:23], v[12:13] op_sel:[0,0,1] op_sel_hi:[1,1,0] neg_lo:[0,0,1] neg_hi:[0,0,1]
	v_pk_add_f32 v[22:23], v[2:3], v[8:9] op_sel:[0,1] op_sel_hi:[1,0] neg_lo:[0,1] neg_hi:[0,1]
	v_pk_add_f32 v[2:3], v[2:3], v[8:9] op_sel:[0,1] op_sel_hi:[1,0]
	v_mov_b32_e32 v9, v23
	v_mov_b32_e32 v8, v2
	;; [unrolled: 1-line block ×3, first 2 shown]
	v_pk_add_f32 v[2:3], v[42:43], v[44:45]
	v_mov_b32_e32 v53, v21
	v_pk_fma_f32 v[2:3], v[2:3], 0.5, v[10:11] op_sel_hi:[1,0,1] neg_lo:[1,0,0] neg_hi:[1,0,0]
	v_pk_add_f32 v[10:11], v[42:43], v[44:45] neg_lo:[0,1] neg_hi:[0,1]
	v_pk_add_f32 v[20:21], v[16:17], v[48:49]
	v_pk_mul_f32 v[10:11], v[10:11], s[0:1] op_sel_hi:[1,0]
	v_mov_b32_e32 v51, v13
	v_pk_add_f32 v[34:35], v[2:3], v[10:11] op_sel:[0,1] op_sel_hi:[1,0] neg_lo:[0,1] neg_hi:[0,1]
	v_pk_add_f32 v[2:3], v[2:3], v[10:11] op_sel:[0,1] op_sel_hi:[1,0]
	v_mov_b32_e32 v11, v35
	v_mov_b32_e32 v10, v2
	ds_write2_b64 v125, v[8:9], v[10:11] offset0:48 offset1:139
	v_mov_b32_e32 v35, v3
	v_pk_add_f32 v[2:3], v[48:49], v[52:53]
	v_pk_add_f32 v[8:9], v[48:49], v[52:53] neg_lo:[0,1] neg_hi:[0,1]
	v_pk_fma_f32 v[2:3], v[2:3], 0.5, v[16:17] op_sel_hi:[1,0,1] neg_lo:[1,0,0] neg_hi:[1,0,0]
	v_pk_mul_f32 v[8:9], v[8:9], s[0:1] op_sel_hi:[1,0]
	ds_write2_b64 v130, v[22:23], v[34:35] offset0:51 offset1:142
	ds_write2_b64 v129, v[40:41], v[46:47] offset0:54 offset1:145
	v_pk_add_f32 v[10:11], v[2:3], v[8:9] op_sel:[0,1] op_sel_hi:[1,0] neg_lo:[0,1] neg_hi:[0,1]
	v_pk_add_f32 v[2:3], v[2:3], v[8:9] op_sel:[0,1] op_sel_hi:[1,0]
	v_mov_b32_e32 v8, v10
	v_mov_b32_e32 v9, v3
	;; [unrolled: 1-line block ×3, first 2 shown]
	ds_write_b64 v136, v[2:3] offset:13104
	ds_read_b64 v[2:3], v136 offset:14560
	ds_write_b64 v136, v[8:9] offset:8008
	v_pk_mul_f32 v[8:9], v[68:69], v[14:15] op_sel:[1,0]
	v_pk_add_f32 v[12:13], v[18:19], v[54:55]
	v_pk_fma_f32 v[10:11], v[68:69], v[14:15], v[8:9] op_sel:[0,0,1] op_sel_hi:[1,1,0]
	v_pk_fma_f32 v[8:9], v[68:69], v[14:15], v[8:9] op_sel:[0,0,1] op_sel_hi:[0,1,0] neg_lo:[0,0,1] neg_hi:[0,0,1]
	v_mov_b32_e32 v11, v9
	s_waitcnt lgkmcnt(1)
	v_pk_mul_f32 v[8:9], v[70:71], v[2:3] op_sel:[1,0]
	v_pk_add_f32 v[20:21], v[20:21], v[52:53]
	v_pk_fma_f32 v[14:15], v[70:71], v[2:3], v[8:9] op_sel:[0,0,1] op_sel_hi:[1,1,0]
	v_pk_fma_f32 v[2:3], v[70:71], v[2:3], v[8:9] op_sel:[0,0,1] op_sel_hi:[0,1,0] neg_lo:[0,0,1] neg_hi:[0,0,1]
	v_pk_add_f32 v[8:9], v[26:27], v[28:29]
	v_mov_b32_e32 v15, v3
	v_pk_fma_f32 v[4:5], v[8:9], 0.5, v[4:5] op_sel_hi:[1,0,1] neg_lo:[1,0,0] neg_hi:[1,0,0]
	v_pk_add_f32 v[8:9], v[26:27], v[28:29] neg_lo:[0,1] neg_hi:[0,1]
	v_pk_add_f32 v[2:3], v[0:1], v[10:11]
	v_pk_mul_f32 v[8:9], v[8:9], s[0:1] op_sel_hi:[1,0]
	v_pk_add_f32 v[2:3], v[2:3], v[14:15]
	v_pk_add_f32 v[16:17], v[4:5], v[8:9] op_sel:[0,1] op_sel_hi:[1,0] neg_lo:[0,1] neg_hi:[0,1]
	v_pk_add_f32 v[4:5], v[4:5], v[8:9] op_sel:[0,1] op_sel_hi:[1,0]
	v_mov_b32_e32 v9, v17
	v_mov_b32_e32 v8, v4
	;; [unrolled: 1-line block ×3, first 2 shown]
	v_pk_add_f32 v[4:5], v[30:31], v[32:33]
	v_pk_add_f32 v[12:13], v[12:13], v[50:51]
	v_pk_fma_f32 v[4:5], v[4:5], 0.5, v[6:7] op_sel_hi:[1,0,1] neg_lo:[1,0,0] neg_hi:[1,0,0]
	v_pk_add_f32 v[6:7], v[30:31], v[32:33] neg_lo:[0,1] neg_hi:[0,1]
	s_movk_i32 s10, 0x1000
	v_pk_mul_f32 v[6:7], v[6:7], s[0:1] op_sel_hi:[1,0]
	s_movk_i32 s8, 0x3000
	v_pk_add_f32 v[22:23], v[4:5], v[6:7] op_sel:[0,1] op_sel_hi:[1,0] neg_lo:[0,1] neg_hi:[0,1]
	v_pk_add_f32 v[4:5], v[4:5], v[6:7] op_sel:[0,1] op_sel_hi:[1,0]
	v_mov_b32_e32 v7, v23
	v_mov_b32_e32 v6, v4
	;; [unrolled: 1-line block ×3, first 2 shown]
	ds_write2_b64 v126, v[8:9], v[6:7] offset0:122 offset1:213
	ds_write2_b64 v127, v[16:17], v[22:23] offset0:125 offset1:216
	;; [unrolled: 1-line block ×3, first 2 shown]
	v_pk_add_f32 v[4:5], v[54:55], v[50:51]
	v_pk_add_f32 v[6:7], v[54:55], v[50:51] neg_lo:[0,1] neg_hi:[0,1]
	ds_write_b64 v136, v[2:3] offset:4368
	v_pk_add_f32 v[2:3], v[10:11], v[14:15]
	v_pk_fma_f32 v[4:5], v[4:5], 0.5, v[18:19] op_sel_hi:[1,0,1] neg_lo:[1,0,0] neg_hi:[1,0,0]
	v_pk_mul_f32 v[6:7], v[6:7], s[0:1] op_sel_hi:[1,0]
	v_pk_fma_f32 v[0:1], v[2:3], 0.5, v[0:1] op_sel_hi:[1,0,1] neg_lo:[1,0,0] neg_hi:[1,0,0]
	v_pk_add_f32 v[2:3], v[10:11], v[14:15] neg_lo:[0,1] neg_hi:[0,1]
	v_pk_add_f32 v[8:9], v[4:5], v[6:7] op_sel:[0,1] op_sel_hi:[1,0] neg_lo:[0,1] neg_hi:[0,1]
	v_pk_add_f32 v[4:5], v[4:5], v[6:7] op_sel:[0,1] op_sel_hi:[1,0]
	v_pk_mul_f32 v[2:3], v[2:3], s[0:1] op_sel_hi:[1,0]
	v_mov_b32_e32 v6, v8
	v_mov_b32_e32 v7, v5
	;; [unrolled: 1-line block ×3, first 2 shown]
	v_pk_add_f32 v[8:9], v[0:1], v[2:3] op_sel:[0,1] op_sel_hi:[1,0] neg_lo:[0,1] neg_hi:[0,1]
	v_pk_add_f32 v[0:1], v[0:1], v[2:3] op_sel:[0,1] op_sel_hi:[1,0]
	v_mov_b32_e32 v2, v8
	v_mov_b32_e32 v3, v1
	ds_write2_b64 v107, v[6:7], v[2:3] offset0:68 offset1:159
	v_mov_b32_e32 v1, v9
	v_add_u32_e32 v2, 0x3400, v136
	ds_write2_b64 v2, v[4:5], v[0:1] offset0:65 offset1:156
	s_waitcnt lgkmcnt(0)
	s_barrier
	ds_read2_b64 v[0:3], v136 offset1:147
	v_accvgpr_read_b32 v6, a28
	v_accvgpr_read_b32 v7, a29
	s_mov_b32 s0, 0xa36ec936
	s_mov_b32 s1, 0x3f4125a4
	s_waitcnt lgkmcnt(0)
	v_mul_f32_e32 v4, v7, v1
	v_fmac_f32_e32 v4, v6, v0
	v_mul_f32_e32 v0, v7, v0
	v_fma_f32 v0, v6, v1, -v0
	v_cvt_f64_f32_e32 v[4:5], v4
	v_cvt_f64_f32_e32 v[0:1], v0
	v_mul_f64 v[4:5], v[4:5], s[0:1]
	v_mul_f64 v[0:1], v[0:1], s[0:1]
	v_accvgpr_read_b32 v8, a8
	v_cvt_f32_f64_e32 v4, v[4:5]
	v_cvt_f32_f64_e32 v5, v[0:1]
	v_mad_u64_u32 v[0:1], s[6:7], s4, v8, 0
	v_mov_b32_e32 v6, v1
	v_mov_b32_e32 v107, v24
	v_mad_u64_u32 v[6:7], s[6:7], s5, v8, v[6:7]
	v_accvgpr_read_b32 v8, a26
	v_mov_b32_e32 v1, v6
	v_lshl_add_u64 v[6:7], v[106:107], 3, v[104:105]
	v_accvgpr_read_b32 v9, a27
	v_lshl_add_u64 v[6:7], v[0:1], 3, v[6:7]
	v_mul_f32_e32 v0, v9, v3
	v_fmac_f32_e32 v0, v8, v2
	v_cvt_f64_f32_e32 v[0:1], v0
	v_mul_f64 v[0:1], v[0:1], s[0:1]
	global_store_dwordx2 v[6:7], v[4:5], off
	v_cvt_f32_f64_e32 v4, v[0:1]
	v_mul_f32_e32 v0, v9, v2
	v_fma_f32 v0, v8, v3, -v0
	v_cvt_f64_f32_e32 v[0:1], v0
	v_mul_f64 v[0:1], v[0:1], s[0:1]
	v_cvt_f32_f64_e32 v5, v[0:1]
	ds_read2_b64 v[0:3], v128 offset0:38 offset1:185
	s_mul_i32 s6, s5, 0x93
	s_mul_hi_u32 s7, s4, 0x93
	s_add_i32 s7, s7, s6
	s_mul_i32 s6, s4, 0x93
	s_lshl_b64 s[6:7], s[6:7], 3
	v_accvgpr_read_b32 v8, a24
	v_lshl_add_u64 v[6:7], v[6:7], 0, s[6:7]
	v_accvgpr_read_b32 v9, a25
	global_store_dwordx2 v[6:7], v[4:5], off
	s_waitcnt lgkmcnt(0)
	v_mul_f32_e32 v4, v9, v1
	v_fmac_f32_e32 v4, v8, v0
	v_mul_f32_e32 v0, v9, v0
	v_fma_f32 v0, v8, v1, -v0
	v_cvt_f64_f32_e32 v[4:5], v4
	v_cvt_f64_f32_e32 v[0:1], v0
	v_accvgpr_read_b32 v8, a20
	v_mul_f64 v[4:5], v[4:5], s[0:1]
	v_mul_f64 v[0:1], v[0:1], s[0:1]
	v_accvgpr_read_b32 v9, a21
	v_cvt_f32_f64_e32 v4, v[4:5]
	v_cvt_f32_f64_e32 v5, v[0:1]
	v_mul_f32_e32 v0, v9, v3
	v_fmac_f32_e32 v0, v8, v2
	v_cvt_f64_f32_e32 v[0:1], v0
	v_lshl_add_u64 v[6:7], v[6:7], 0, s[6:7]
	v_mul_f64 v[0:1], v[0:1], s[0:1]
	global_store_dwordx2 v[6:7], v[4:5], off
	v_cvt_f32_f64_e32 v4, v[0:1]
	v_mul_f32_e32 v0, v9, v2
	v_fma_f32 v0, v8, v3, -v0
	v_cvt_f64_f32_e32 v[8:9], v0
	ds_read2_b64 v[0:3], v127 offset0:76 offset1:223
	v_mul_f64 v[8:9], v[8:9], s[0:1]
	v_cvt_f32_f64_e32 v5, v[8:9]
	v_accvgpr_read_b32 v8, a18
	v_lshl_add_u64 v[6:7], v[6:7], 0, s[6:7]
	v_accvgpr_read_b32 v9, a19
	global_store_dwordx2 v[6:7], v[4:5], off
	s_waitcnt lgkmcnt(0)
	v_mul_f32_e32 v4, v9, v1
	v_fmac_f32_e32 v4, v8, v0
	v_mul_f32_e32 v0, v9, v0
	v_fma_f32 v0, v8, v1, -v0
	v_cvt_f64_f32_e32 v[4:5], v4
	v_cvt_f64_f32_e32 v[0:1], v0
	v_accvgpr_read_b32 v8, a22
	v_mul_f64 v[4:5], v[4:5], s[0:1]
	v_mul_f64 v[0:1], v[0:1], s[0:1]
	v_accvgpr_read_b32 v9, a23
	v_cvt_f32_f64_e32 v4, v[4:5]
	v_cvt_f32_f64_e32 v5, v[0:1]
	v_mul_f32_e32 v0, v9, v3
	v_fmac_f32_e32 v0, v8, v2
	v_cvt_f64_f32_e32 v[0:1], v0
	v_lshl_add_u64 v[6:7], v[6:7], 0, s[6:7]
	v_mul_f64 v[0:1], v[0:1], s[0:1]
	global_store_dwordx2 v[6:7], v[4:5], off
	v_cvt_f32_f64_e32 v4, v[0:1]
	v_mul_f32_e32 v0, v9, v2
	v_fma_f32 v0, v8, v3, -v0
	v_cvt_f64_f32_e32 v[8:9], v0
	v_add_u32_e32 v0, 0x1a00, v136
	ds_read2_b64 v[0:3], v0 offset0:50 offset1:197
	v_mul_f64 v[8:9], v[8:9], s[0:1]
	v_cvt_f32_f64_e32 v5, v[8:9]
	v_accvgpr_read_b32 v8, a14
	v_lshl_add_u64 v[6:7], v[6:7], 0, s[6:7]
	v_accvgpr_read_b32 v9, a15
	global_store_dwordx2 v[6:7], v[4:5], off
	s_waitcnt lgkmcnt(0)
	v_mul_f32_e32 v4, v9, v1
	v_fmac_f32_e32 v4, v8, v0
	v_mul_f32_e32 v0, v9, v0
	v_fma_f32 v0, v8, v1, -v0
	v_cvt_f64_f32_e32 v[4:5], v4
	v_cvt_f64_f32_e32 v[0:1], v0
	v_accvgpr_read_b32 v8, a16
	v_mul_f64 v[4:5], v[4:5], s[0:1]
	v_mul_f64 v[0:1], v[0:1], s[0:1]
	v_accvgpr_read_b32 v9, a17
	v_cvt_f32_f64_e32 v4, v[4:5]
	v_cvt_f32_f64_e32 v5, v[0:1]
	v_mul_f32_e32 v0, v9, v3
	v_fmac_f32_e32 v0, v8, v2
	v_cvt_f64_f32_e32 v[0:1], v0
	v_lshl_add_u64 v[6:7], v[6:7], 0, s[6:7]
	v_mul_f64 v[0:1], v[0:1], s[0:1]
	global_store_dwordx2 v[6:7], v[4:5], off
	v_cvt_f32_f64_e32 v4, v[0:1]
	v_mul_f32_e32 v0, v9, v2
	v_fma_f32 v0, v8, v3, -v0
	v_cvt_f64_f32_e32 v[8:9], v0
	ds_read2_b64 v[0:3], v126 offset0:24 offset1:171
	v_mul_f64 v[8:9], v[8:9], s[0:1]
	v_cvt_f32_f64_e32 v5, v[8:9]
	v_accvgpr_read_b32 v8, a10
	v_lshl_add_u64 v[6:7], v[6:7], 0, s[6:7]
	v_accvgpr_read_b32 v9, a11
	global_store_dwordx2 v[6:7], v[4:5], off
	s_waitcnt lgkmcnt(0)
	v_mul_f32_e32 v4, v9, v1
	v_fmac_f32_e32 v4, v8, v0
	v_mul_f32_e32 v0, v9, v0
	v_fma_f32 v0, v8, v1, -v0
	v_cvt_f64_f32_e32 v[4:5], v4
	v_cvt_f64_f32_e32 v[0:1], v0
	v_accvgpr_read_b32 v8, a12
	v_mul_f64 v[4:5], v[4:5], s[0:1]
	v_mul_f64 v[0:1], v[0:1], s[0:1]
	v_accvgpr_read_b32 v9, a13
	v_cvt_f32_f64_e32 v4, v[4:5]
	v_cvt_f32_f64_e32 v5, v[0:1]
	v_mul_f32_e32 v0, v9, v3
	v_fmac_f32_e32 v0, v8, v2
	v_cvt_f64_f32_e32 v[0:1], v0
	v_lshl_add_u64 v[6:7], v[6:7], 0, s[6:7]
	v_mul_f64 v[0:1], v[0:1], s[0:1]
	global_store_dwordx2 v[6:7], v[4:5], off
	v_cvt_f32_f64_e32 v4, v[0:1]
	v_mul_f32_e32 v0, v9, v2
	v_fma_f32 v0, v8, v3, -v0
	v_cvt_f64_f32_e32 v[8:9], v0
	ds_read2_b64 v[0:3], v125 offset0:62 offset1:209
	v_mul_f64 v[8:9], v[8:9], s[0:1]
	v_cvt_f32_f64_e32 v5, v[8:9]
	v_lshl_add_u64 v[6:7], v[6:7], 0, s[6:7]
	v_accvgpr_read_b32 v9, a5
	global_store_dwordx2 v[6:7], v[4:5], off
	v_accvgpr_read_b32 v8, a4
	s_waitcnt lgkmcnt(0)
	v_mul_f32_e32 v4, v9, v1
	v_fmac_f32_e32 v4, v8, v0
	v_mul_f32_e32 v0, v9, v0
	v_fma_f32 v0, v8, v1, -v0
	v_cvt_f64_f32_e32 v[4:5], v4
	v_cvt_f64_f32_e32 v[0:1], v0
	v_mul_f64 v[4:5], v[4:5], s[0:1]
	v_mul_f64 v[0:1], v[0:1], s[0:1]
	v_cvt_f32_f64_e32 v4, v[4:5]
	v_cvt_f32_f64_e32 v5, v[0:1]
	v_lshl_add_u64 v[0:1], v[6:7], 0, s[6:7]
	v_accvgpr_read_b32 v6, a6
	v_accvgpr_read_b32 v7, a7
	global_store_dwordx2 v[0:1], v[4:5], off
	v_mul_f32_e32 v4, v7, v3
	v_fmac_f32_e32 v4, v6, v2
	v_mul_f32_e32 v2, v7, v2
	v_fma_f32 v2, v6, v3, -v2
	ds_read_b64 v[6:7], v136 offset:14112
	v_cvt_f64_f32_e32 v[4:5], v4
	v_cvt_f64_f32_e32 v[2:3], v2
	v_mul_f64 v[4:5], v[4:5], s[0:1]
	v_mul_f64 v[2:3], v[2:3], s[0:1]
	v_cvt_f32_f64_e32 v4, v[4:5]
	v_cvt_f32_f64_e32 v5, v[2:3]
	v_lshl_add_u64 v[0:1], v[0:1], 0, s[6:7]
	global_store_dwordx2 v[0:1], v[4:5], off
	v_accvgpr_read_b32 v5, a3
	v_accvgpr_read_b32 v4, a2
	s_waitcnt lgkmcnt(0)
	v_mul_f32_e32 v2, v5, v7
	v_fmac_f32_e32 v2, v4, v6
	v_cvt_f64_f32_e32 v[2:3], v2
	v_mul_f64 v[2:3], v[2:3], s[0:1]
	v_cvt_f32_f64_e32 v2, v[2:3]
	v_mul_f32_e32 v3, v5, v6
	v_fma_f32 v3, v4, v7, -v3
	v_cvt_f64_f32_e32 v[4:5], v3
	v_mul_f64 v[4:5], v[4:5], s[0:1]
	s_movk_i32 s9, 0x2000
	v_cvt_f32_f64_e32 v3, v[4:5]
	v_lshl_add_u64 v[0:1], v[0:1], 0, s[6:7]
	global_store_dwordx2 v[0:1], v[2:3], off
	s_and_b64 exec, exec, s[2:3]
	s_cbranch_execz .LBB0_15
; %bb.14:
	v_accvgpr_read_b32 v13, a1
	v_accvgpr_read_b32 v12, a0
	global_load_dwordx2 v[6:7], v[12:13], off offset:728
	ds_read2_b64 v[2:5], v136 offset0:91 offset1:238
	v_mov_b32_e32 v8, 0xffffcbb8
	v_mad_u64_u32 v[0:1], s[2:3], s4, v8, v[0:1]
	s_mulk_i32 s5, 0xcbb8
	s_sub_i32 s2, s5, s4
	v_add_u32_e32 v1, s2, v1
	s_waitcnt vmcnt(0) lgkmcnt(0)
	v_mul_f32_e32 v8, v3, v7
	v_mul_f32_e32 v7, v2, v7
	v_fmac_f32_e32 v8, v2, v6
	v_fma_f32 v6, v6, v3, -v7
	v_cvt_f64_f32_e32 v[2:3], v8
	v_cvt_f64_f32_e32 v[6:7], v6
	v_mul_f64 v[2:3], v[2:3], s[0:1]
	v_mul_f64 v[6:7], v[6:7], s[0:1]
	v_cvt_f32_f64_e32 v2, v[2:3]
	v_cvt_f32_f64_e32 v3, v[6:7]
	global_store_dwordx2 v[0:1], v[2:3], off
	global_load_dwordx2 v[2:3], v[12:13], off offset:1904
	v_lshl_add_u64 v[6:7], v[0:1], 0, s[6:7]
	v_add_co_u32_e32 v8, vcc, s10, v12
	s_waitcnt vmcnt(0)
	v_mul_f32_e32 v0, v5, v3
	v_mul_f32_e32 v1, v4, v3
	v_fmac_f32_e32 v0, v4, v2
	v_fma_f32 v2, v2, v5, -v1
	v_cvt_f64_f32_e32 v[0:1], v0
	v_cvt_f64_f32_e32 v[2:3], v2
	v_mul_f64 v[0:1], v[0:1], s[0:1]
	v_mul_f64 v[2:3], v[2:3], s[0:1]
	v_cvt_f32_f64_e32 v0, v[0:1]
	v_cvt_f32_f64_e32 v1, v[2:3]
	global_store_dwordx2 v[6:7], v[0:1], off
	global_load_dwordx2 v[4:5], v[12:13], off offset:3080
	v_add_u32_e32 v0, 0xc00, v136
	ds_read2_b64 v[0:3], v0 offset0:1 offset1:148
	v_lshl_add_u64 v[6:7], v[6:7], 0, s[6:7]
	v_addc_co_u32_e32 v9, vcc, 0, v13, vcc
	s_waitcnt vmcnt(0) lgkmcnt(0)
	v_mul_f32_e32 v10, v1, v5
	v_mul_f32_e32 v5, v0, v5
	v_fmac_f32_e32 v10, v0, v4
	v_fma_f32 v4, v4, v1, -v5
	v_cvt_f64_f32_e32 v[0:1], v10
	v_cvt_f64_f32_e32 v[4:5], v4
	v_mul_f64 v[0:1], v[0:1], s[0:1]
	v_mul_f64 v[4:5], v[4:5], s[0:1]
	v_cvt_f32_f64_e32 v0, v[0:1]
	v_cvt_f32_f64_e32 v1, v[4:5]
	global_store_dwordx2 v[6:7], v[0:1], off
	global_load_dwordx2 v[0:1], v[8:9], off offset:160
	v_lshl_add_u64 v[4:5], v[6:7], 0, s[6:7]
	s_waitcnt vmcnt(0)
	v_mul_f32_e32 v6, v3, v1
	v_mul_f32_e32 v1, v2, v1
	v_fmac_f32_e32 v6, v2, v0
	v_fma_f32 v2, v0, v3, -v1
	v_cvt_f64_f32_e32 v[0:1], v6
	v_cvt_f64_f32_e32 v[2:3], v2
	v_mul_f64 v[0:1], v[0:1], s[0:1]
	v_mul_f64 v[2:3], v[2:3], s[0:1]
	v_cvt_f32_f64_e32 v0, v[0:1]
	v_cvt_f32_f64_e32 v1, v[2:3]
	global_store_dwordx2 v[4:5], v[0:1], off
	global_load_dwordx2 v[6:7], v[8:9], off offset:1336
	ds_read2_b64 v[0:3], v124 offset0:39 offset1:186
	v_lshl_add_u64 v[4:5], v[4:5], 0, s[6:7]
	s_waitcnt vmcnt(0) lgkmcnt(0)
	v_mul_f32_e32 v10, v1, v7
	v_mul_f32_e32 v7, v0, v7
	v_fmac_f32_e32 v10, v0, v6
	v_fma_f32 v6, v6, v1, -v7
	v_cvt_f64_f32_e32 v[0:1], v10
	v_cvt_f64_f32_e32 v[6:7], v6
	v_mul_f64 v[0:1], v[0:1], s[0:1]
	v_mul_f64 v[6:7], v[6:7], s[0:1]
	v_cvt_f32_f64_e32 v0, v[0:1]
	v_cvt_f32_f64_e32 v1, v[6:7]
	global_store_dwordx2 v[4:5], v[0:1], off
	global_load_dwordx2 v[0:1], v[8:9], off offset:2512
	v_lshl_add_u64 v[4:5], v[4:5], 0, s[6:7]
	s_waitcnt vmcnt(0)
	v_mul_f32_e32 v6, v3, v1
	v_mul_f32_e32 v1, v2, v1
	v_fmac_f32_e32 v6, v2, v0
	v_fma_f32 v2, v0, v3, -v1
	v_cvt_f64_f32_e32 v[0:1], v6
	v_cvt_f64_f32_e32 v[2:3], v2
	v_mul_f64 v[0:1], v[0:1], s[0:1]
	v_mul_f64 v[2:3], v[2:3], s[0:1]
	v_cvt_f32_f64_e32 v0, v[0:1]
	v_cvt_f32_f64_e32 v1, v[2:3]
	global_store_dwordx2 v[4:5], v[0:1], off
	global_load_dwordx2 v[6:7], v[8:9], off offset:3688
	v_add_u32_e32 v0, 0x1c00, v136
	ds_read2_b64 v[0:3], v0 offset0:77 offset1:224
	v_add_co_u32_e32 v8, vcc, s9, v12
	v_lshl_add_u64 v[4:5], v[4:5], 0, s[6:7]
	s_nop 0
	v_addc_co_u32_e32 v9, vcc, 0, v13, vcc
	s_waitcnt vmcnt(0) lgkmcnt(0)
	v_mul_f32_e32 v10, v1, v7
	v_mul_f32_e32 v7, v0, v7
	v_fmac_f32_e32 v10, v0, v6
	v_fma_f32 v6, v6, v1, -v7
	v_cvt_f64_f32_e32 v[0:1], v10
	v_cvt_f64_f32_e32 v[6:7], v6
	v_mul_f64 v[0:1], v[0:1], s[0:1]
	v_mul_f64 v[6:7], v[6:7], s[0:1]
	v_cvt_f32_f64_e32 v0, v[0:1]
	v_cvt_f32_f64_e32 v1, v[6:7]
	global_store_dwordx2 v[4:5], v[0:1], off
	global_load_dwordx2 v[0:1], v[8:9], off offset:768
	v_lshl_add_u64 v[4:5], v[4:5], 0, s[6:7]
	s_waitcnt vmcnt(0)
	v_mul_f32_e32 v6, v3, v1
	v_mul_f32_e32 v1, v2, v1
	v_fmac_f32_e32 v6, v2, v0
	v_fma_f32 v2, v0, v3, -v1
	v_cvt_f64_f32_e32 v[0:1], v6
	v_cvt_f64_f32_e32 v[2:3], v2
	v_mul_f64 v[0:1], v[0:1], s[0:1]
	v_mul_f64 v[2:3], v[2:3], s[0:1]
	v_cvt_f32_f64_e32 v0, v[0:1]
	v_cvt_f32_f64_e32 v1, v[2:3]
	global_store_dwordx2 v[4:5], v[0:1], off
	global_load_dwordx2 v[6:7], v[8:9], off offset:1944
	v_add_u32_e32 v0, 0x2600, v136
	ds_read2_b64 v[0:3], v0 offset0:51 offset1:198
	v_lshl_add_u64 v[4:5], v[4:5], 0, s[6:7]
	s_waitcnt vmcnt(0) lgkmcnt(0)
	v_mul_f32_e32 v10, v1, v7
	v_mul_f32_e32 v7, v0, v7
	v_fmac_f32_e32 v10, v0, v6
	v_fma_f32 v6, v6, v1, -v7
	v_cvt_f64_f32_e32 v[0:1], v10
	v_cvt_f64_f32_e32 v[6:7], v6
	v_mul_f64 v[0:1], v[0:1], s[0:1]
	v_mul_f64 v[6:7], v[6:7], s[0:1]
	v_cvt_f32_f64_e32 v0, v[0:1]
	v_cvt_f32_f64_e32 v1, v[6:7]
	global_store_dwordx2 v[4:5], v[0:1], off
	global_load_dwordx2 v[0:1], v[8:9], off offset:3120
	v_add_co_u32_e32 v6, vcc, s8, v12
	v_lshl_add_u64 v[4:5], v[4:5], 0, s[6:7]
	s_nop 0
	v_addc_co_u32_e32 v7, vcc, 0, v13, vcc
	s_waitcnt vmcnt(0)
	v_mul_f32_e32 v8, v3, v1
	v_mul_f32_e32 v1, v2, v1
	v_fmac_f32_e32 v8, v2, v0
	v_fma_f32 v2, v0, v3, -v1
	v_cvt_f64_f32_e32 v[0:1], v8
	v_cvt_f64_f32_e32 v[2:3], v2
	v_mul_f64 v[0:1], v[0:1], s[0:1]
	v_mul_f64 v[2:3], v[2:3], s[0:1]
	v_cvt_f32_f64_e32 v0, v[0:1]
	v_cvt_f32_f64_e32 v1, v[2:3]
	global_store_dwordx2 v[4:5], v[0:1], off
	global_load_dwordx2 v[8:9], v[6:7], off offset:200
	ds_read2_b64 v[0:3], v109 offset0:25 offset1:172
	v_lshl_add_u64 v[4:5], v[4:5], 0, s[6:7]
	s_waitcnt vmcnt(0) lgkmcnt(0)
	v_mul_f32_e32 v10, v1, v9
	v_mul_f32_e32 v9, v0, v9
	v_fmac_f32_e32 v10, v0, v8
	v_fma_f32 v8, v8, v1, -v9
	v_cvt_f64_f32_e32 v[0:1], v10
	v_cvt_f64_f32_e32 v[8:9], v8
	v_mul_f64 v[0:1], v[0:1], s[0:1]
	v_mul_f64 v[8:9], v[8:9], s[0:1]
	v_cvt_f32_f64_e32 v0, v[0:1]
	v_cvt_f32_f64_e32 v1, v[8:9]
	global_store_dwordx2 v[4:5], v[0:1], off
	global_load_dwordx2 v[0:1], v[6:7], off offset:1376
	v_lshl_add_u64 v[4:5], v[4:5], 0, s[6:7]
	s_waitcnt vmcnt(0)
	v_mul_f32_e32 v8, v3, v1
	v_mul_f32_e32 v1, v2, v1
	v_fmac_f32_e32 v8, v2, v0
	v_fma_f32 v2, v0, v3, -v1
	v_cvt_f64_f32_e32 v[0:1], v8
	v_cvt_f64_f32_e32 v[2:3], v2
	v_mul_f64 v[0:1], v[0:1], s[0:1]
	v_mul_f64 v[2:3], v[2:3], s[0:1]
	v_cvt_f32_f64_e32 v0, v[0:1]
	v_cvt_f32_f64_e32 v1, v[2:3]
	global_store_dwordx2 v[4:5], v[0:1], off
	global_load_dwordx2 v[0:1], v[6:7], off offset:2552
	ds_read_b64 v[2:3], v136 offset:14840
	s_waitcnt vmcnt(0) lgkmcnt(0)
	v_mul_f32_e32 v6, v3, v1
	v_mul_f32_e32 v1, v2, v1
	v_fmac_f32_e32 v6, v2, v0
	v_fma_f32 v2, v0, v3, -v1
	v_cvt_f64_f32_e32 v[0:1], v6
	v_cvt_f64_f32_e32 v[2:3], v2
	v_mul_f64 v[0:1], v[0:1], s[0:1]
	v_mul_f64 v[2:3], v[2:3], s[0:1]
	v_cvt_f32_f64_e32 v0, v[0:1]
	v_cvt_f32_f64_e32 v1, v[2:3]
	v_lshl_add_u64 v[2:3], v[4:5], 0, s[6:7]
	global_store_dwordx2 v[2:3], v[0:1], off
.LBB0_15:
	s_endpgm
	.section	.rodata,"a",@progbits
	.p2align	6, 0x0
	.amdhsa_kernel bluestein_single_back_len1911_dim1_sp_op_CI_CI
		.amdhsa_group_segment_fixed_size 15288
		.amdhsa_private_segment_fixed_size 0
		.amdhsa_kernarg_size 104
		.amdhsa_user_sgpr_count 2
		.amdhsa_user_sgpr_dispatch_ptr 0
		.amdhsa_user_sgpr_queue_ptr 0
		.amdhsa_user_sgpr_kernarg_segment_ptr 1
		.amdhsa_user_sgpr_dispatch_id 0
		.amdhsa_user_sgpr_kernarg_preload_length 0
		.amdhsa_user_sgpr_kernarg_preload_offset 0
		.amdhsa_user_sgpr_private_segment_size 0
		.amdhsa_uses_dynamic_stack 0
		.amdhsa_enable_private_segment 0
		.amdhsa_system_sgpr_workgroup_id_x 1
		.amdhsa_system_sgpr_workgroup_id_y 0
		.amdhsa_system_sgpr_workgroup_id_z 0
		.amdhsa_system_sgpr_workgroup_info 0
		.amdhsa_system_vgpr_workitem_id 0
		.amdhsa_next_free_vgpr 353
		.amdhsa_next_free_sgpr 56
		.amdhsa_accum_offset 256
		.amdhsa_reserve_vcc 1
		.amdhsa_float_round_mode_32 0
		.amdhsa_float_round_mode_16_64 0
		.amdhsa_float_denorm_mode_32 3
		.amdhsa_float_denorm_mode_16_64 3
		.amdhsa_dx10_clamp 1
		.amdhsa_ieee_mode 1
		.amdhsa_fp16_overflow 0
		.amdhsa_tg_split 0
		.amdhsa_exception_fp_ieee_invalid_op 0
		.amdhsa_exception_fp_denorm_src 0
		.amdhsa_exception_fp_ieee_div_zero 0
		.amdhsa_exception_fp_ieee_overflow 0
		.amdhsa_exception_fp_ieee_underflow 0
		.amdhsa_exception_fp_ieee_inexact 0
		.amdhsa_exception_int_div_zero 0
	.end_amdhsa_kernel
	.text
.Lfunc_end0:
	.size	bluestein_single_back_len1911_dim1_sp_op_CI_CI, .Lfunc_end0-bluestein_single_back_len1911_dim1_sp_op_CI_CI
                                        ; -- End function
	.section	.AMDGPU.csdata,"",@progbits
; Kernel info:
; codeLenInByte = 30052
; NumSgprs: 62
; NumVgprs: 256
; NumAgprs: 97
; TotalNumVgprs: 353
; ScratchSize: 0
; MemoryBound: 0
; FloatMode: 240
; IeeeMode: 1
; LDSByteSize: 15288 bytes/workgroup (compile time only)
; SGPRBlocks: 7
; VGPRBlocks: 44
; NumSGPRsForWavesPerEU: 62
; NumVGPRsForWavesPerEU: 353
; AccumOffset: 256
; Occupancy: 1
; WaveLimiterHint : 1
; COMPUTE_PGM_RSRC2:SCRATCH_EN: 0
; COMPUTE_PGM_RSRC2:USER_SGPR: 2
; COMPUTE_PGM_RSRC2:TRAP_HANDLER: 0
; COMPUTE_PGM_RSRC2:TGID_X_EN: 1
; COMPUTE_PGM_RSRC2:TGID_Y_EN: 0
; COMPUTE_PGM_RSRC2:TGID_Z_EN: 0
; COMPUTE_PGM_RSRC2:TIDIG_COMP_CNT: 0
; COMPUTE_PGM_RSRC3_GFX90A:ACCUM_OFFSET: 63
; COMPUTE_PGM_RSRC3_GFX90A:TG_SPLIT: 0
	.text
	.p2alignl 6, 3212836864
	.fill 256, 4, 3212836864
	.type	__hip_cuid_d6b45b186b50a7a3,@object ; @__hip_cuid_d6b45b186b50a7a3
	.section	.bss,"aw",@nobits
	.globl	__hip_cuid_d6b45b186b50a7a3
__hip_cuid_d6b45b186b50a7a3:
	.byte	0                               ; 0x0
	.size	__hip_cuid_d6b45b186b50a7a3, 1

	.ident	"AMD clang version 19.0.0git (https://github.com/RadeonOpenCompute/llvm-project roc-6.4.0 25133 c7fe45cf4b819c5991fe208aaa96edf142730f1d)"
	.section	".note.GNU-stack","",@progbits
	.addrsig
	.addrsig_sym __hip_cuid_d6b45b186b50a7a3
	.amdgpu_metadata
---
amdhsa.kernels:
  - .agpr_count:     97
    .args:
      - .actual_access:  read_only
        .address_space:  global
        .offset:         0
        .size:           8
        .value_kind:     global_buffer
      - .actual_access:  read_only
        .address_space:  global
        .offset:         8
        .size:           8
        .value_kind:     global_buffer
      - .actual_access:  read_only
        .address_space:  global
        .offset:         16
        .size:           8
        .value_kind:     global_buffer
      - .actual_access:  read_only
        .address_space:  global
        .offset:         24
        .size:           8
        .value_kind:     global_buffer
      - .actual_access:  read_only
        .address_space:  global
        .offset:         32
        .size:           8
        .value_kind:     global_buffer
      - .offset:         40
        .size:           8
        .value_kind:     by_value
      - .address_space:  global
        .offset:         48
        .size:           8
        .value_kind:     global_buffer
      - .address_space:  global
        .offset:         56
        .size:           8
        .value_kind:     global_buffer
      - .address_space:  global
        .offset:         64
        .size:           8
        .value_kind:     global_buffer
      - .address_space:  global
        .offset:         72
        .size:           8
        .value_kind:     global_buffer
      - .offset:         80
        .size:           4
        .value_kind:     by_value
      - .address_space:  global
        .offset:         88
        .size:           8
        .value_kind:     global_buffer
      - .address_space:  global
        .offset:         96
        .size:           8
        .value_kind:     global_buffer
    .group_segment_fixed_size: 15288
    .kernarg_segment_align: 8
    .kernarg_segment_size: 104
    .language:       OpenCL C
    .language_version:
      - 2
      - 0
    .max_flat_workgroup_size: 91
    .name:           bluestein_single_back_len1911_dim1_sp_op_CI_CI
    .private_segment_fixed_size: 0
    .sgpr_count:     62
    .sgpr_spill_count: 0
    .symbol:         bluestein_single_back_len1911_dim1_sp_op_CI_CI.kd
    .uniform_work_group_size: 1
    .uses_dynamic_stack: false
    .vgpr_count:     353
    .vgpr_spill_count: 0
    .wavefront_size: 64
amdhsa.target:   amdgcn-amd-amdhsa--gfx950
amdhsa.version:
  - 1
  - 2
...

	.end_amdgpu_metadata
